;; amdgpu-corpus repo=ROCm/rocFFT kind=compiled arch=gfx1100 opt=O3
	.text
	.amdgcn_target "amdgcn-amd-amdhsa--gfx1100"
	.amdhsa_code_object_version 6
	.protected	bluestein_single_fwd_len850_dim1_dp_op_CI_CI ; -- Begin function bluestein_single_fwd_len850_dim1_dp_op_CI_CI
	.globl	bluestein_single_fwd_len850_dim1_dp_op_CI_CI
	.p2align	8
	.type	bluestein_single_fwd_len850_dim1_dp_op_CI_CI,@function
bluestein_single_fwd_len850_dim1_dp_op_CI_CI: ; @bluestein_single_fwd_len850_dim1_dp_op_CI_CI
; %bb.0:
	s_load_b128 s[16:19], s[0:1], 0x28
	v_mul_u32_u24_e32 v1, 0x304, v0
	s_mov_b32 s2, exec_lo
	v_mov_b32_e32 v8, 0
	s_delay_alu instid0(VALU_DEP_2) | instskip(NEXT) | instid1(VALU_DEP_1)
	v_lshrrev_b32_e32 v1, 16, v1
	v_add_nc_u32_e32 v7, s15, v1
	s_waitcnt lgkmcnt(0)
	s_delay_alu instid0(VALU_DEP_1)
	v_cmpx_gt_u64_e64 s[16:17], v[7:8]
	s_cbranch_execz .LBB0_10
; %bb.1:
	s_clause 0x1
	s_load_b128 s[4:7], s[0:1], 0x18
	s_load_b128 s[8:11], s[0:1], 0x0
	v_mul_lo_u16 v1, 0x55, v1
	s_mov_b32 s16, 0x372fe950
	s_mov_b32 s17, 0x3fd3c6ef
                                        ; implicit-def: $vgpr148_vgpr149
                                        ; implicit-def: $vgpr152_vgpr153
                                        ; implicit-def: $vgpr156_vgpr157
                                        ; implicit-def: $vgpr160_vgpr161
                                        ; implicit-def: $vgpr168_vgpr169
                                        ; implicit-def: $vgpr172_vgpr173
	v_mov_b32_e32 v5, v7
	s_delay_alu instid0(VALU_DEP_2)
	v_sub_nc_u16 v0, v0, v1
	scratch_store_b64 off, v[5:6], off offset:16 ; 8-byte Folded Spill
	v_and_b32_e32 v8, 0xffff, v0
	s_waitcnt lgkmcnt(0)
	s_load_b128 s[12:15], s[4:5], 0x0
	s_waitcnt lgkmcnt(0)
	v_mad_u64_u32 v[1:2], null, s14, v7, 0
	v_mad_u64_u32 v[3:4], null, s12, v8, 0
	s_mul_hi_u32 s3, s12, 0x550
	s_mul_i32 s4, s12, 0x550
	s_delay_alu instid0(VALU_DEP_1) | instskip(SKIP_2) | instid1(VALU_DEP_2)
	v_mad_u64_u32 v[5:6], null, s15, v7, v[2:3]
	v_lshlrev_b32_e32 v255, 4, v8
	s_mov_b32 s15, 0xbfee6f0e
	v_mov_b32_e32 v2, v5
	s_delay_alu instid0(VALU_DEP_4) | instskip(NEXT) | instid1(VALU_DEP_3)
	v_mad_u64_u32 v[6:7], null, s13, v8, v[4:5]
	v_add_co_u32 v198, s2, s8, v255
	s_delay_alu instid0(VALU_DEP_1) | instskip(NEXT) | instid1(VALU_DEP_4)
	v_add_co_ci_u32_e64 v199, null, s9, 0, s2
	v_lshlrev_b64 v[1:2], 4, v[1:2]
	s_delay_alu instid0(VALU_DEP_3)
	v_add_co_u32 v7, vcc_lo, 0x1000, v198
	v_mov_b32_e32 v4, v6
	s_clause 0x1
	global_load_b128 v[84:87], v255, s[8:9]
	global_load_b128 v[88:91], v255, s[8:9] offset:1360
	scratch_store_b32 off, v8, off offset:24 ; 4-byte Folded Spill
	v_add_co_ci_u32_e32 v8, vcc_lo, 0, v199, vcc_lo
	v_add_co_u32 v37, vcc_lo, 0x2000, v198
	v_add_co_ci_u32_e32 v38, vcc_lo, 0, v199, vcc_lo
	v_lshlrev_b64 v[3:4], 4, v[3:4]
	v_add_co_u32 v1, vcc_lo, s18, v1
	v_add_co_ci_u32_e32 v2, vcc_lo, s19, v2, vcc_lo
	s_mul_i32 s2, s13, 0x550
	s_delay_alu instid0(VALU_DEP_2) | instskip(NEXT) | instid1(VALU_DEP_2)
	v_add_co_u32 v1, vcc_lo, v1, v3
	v_add_co_ci_u32_e32 v2, vcc_lo, v2, v4, vcc_lo
	s_add_i32 s3, s3, s2
	s_delay_alu instid0(VALU_DEP_2) | instskip(NEXT) | instid1(VALU_DEP_2)
	v_add_co_u32 v5, vcc_lo, v1, s4
	v_add_co_ci_u32_e32 v6, vcc_lo, s3, v2, vcc_lo
	s_clause 0x1
	global_load_b128 v[92:95], v255, s[8:9] offset:2720
	global_load_b128 v[96:99], v255, s[8:9] offset:4080
	v_add_co_u32 v9, vcc_lo, v5, s4
	v_add_co_ci_u32_e32 v10, vcc_lo, s3, v6, vcc_lo
	s_clause 0x1
	global_load_b128 v[104:107], v[7:8], off offset:1344
	global_load_b128 v[100:103], v[7:8], off offset:2704
	v_add_co_u32 v13, vcc_lo, v9, s4
	v_add_co_ci_u32_e32 v14, vcc_lo, s3, v10, vcc_lo
	global_load_b128 v[108:111], v[7:8], off offset:4064
	v_add_co_u32 v17, vcc_lo, v13, s4
	v_add_co_ci_u32_e32 v18, vcc_lo, s3, v14, vcc_lo
	s_clause 0x1
	global_load_b128 v[1:4], v[1:2], off
	global_load_b128 v[5:8], v[5:6], off
	v_add_co_u32 v21, vcc_lo, v17, s4
	v_add_co_ci_u32_e32 v22, vcc_lo, s3, v18, vcc_lo
	s_clause 0x1
	global_load_b128 v[9:12], v[9:10], off
	global_load_b128 v[13:16], v[13:14], off
	v_add_co_u32 v25, vcc_lo, v21, s4
	v_add_co_ci_u32_e32 v26, vcc_lo, s3, v22, vcc_lo
	global_load_b128 v[17:20], v[17:18], off
	v_add_co_u32 v29, vcc_lo, v25, s4
	v_add_co_ci_u32_e32 v30, vcc_lo, s3, v26, vcc_lo
	;; [unrolled: 3-line block ×3, first 2 shown]
	global_load_b128 v[25:28], v[25:26], off
	v_add_co_u32 v39, vcc_lo, v33, s4
	global_load_b128 v[29:32], v[29:30], off
	v_add_co_ci_u32_e32 v40, vcc_lo, s3, v34, vcc_lo
	s_clause 0x1
	global_load_b128 v[116:119], v[37:38], off offset:1328
	global_load_b128 v[112:115], v[37:38], off offset:2688
	global_load_b128 v[33:36], v[33:34], off
	global_load_b128 v[120:123], v[37:38], off offset:4048
	global_load_b128 v[37:40], v[39:40], off
	s_load_b128 s[4:7], s[6:7], 0x0
	s_mov_b32 s8, 0x134454ff
	s_mov_b32 s9, 0x3fee6f0e
	;; [unrolled: 1-line block ×9, first 2 shown]
	v_cmp_gt_u16_e32 vcc_lo, 50, v0
	s_waitcnt vmcnt(19)
	scratch_store_b128 off, v[84:87], off offset:28 ; 16-byte Folded Spill
	s_waitcnt vmcnt(18)
	scratch_store_b128 off, v[88:91], off offset:44 ; 16-byte Folded Spill
	;; [unrolled: 2-line block ×7, first 2 shown]
	s_waitcnt vmcnt(12)
	v_mul_f64 v[41:42], v[3:4], v[86:87]
	v_mul_f64 v[43:44], v[1:2], v[86:87]
	s_waitcnt vmcnt(11)
	v_mul_f64 v[45:46], v[7:8], v[90:91]
	v_mul_f64 v[47:48], v[5:6], v[90:91]
	;; [unrolled: 3-line block ×7, first 2 shown]
	s_waitcnt vmcnt(4)
	scratch_store_b128 off, v[116:119], off offset:156 ; 16-byte Folded Spill
	v_mul_f64 v[72:73], v[31:32], v[118:119]
	v_mul_f64 v[74:75], v[29:30], v[118:119]
	s_waitcnt vmcnt(1)
	scratch_store_b128 off, v[120:123], off offset:172 ; 16-byte Folded Spill
	v_mul_f64 v[76:77], v[35:36], v[114:115]
	v_mul_f64 v[78:79], v[33:34], v[114:115]
	s_waitcnt vmcnt(0)
	v_mul_f64 v[80:81], v[39:40], v[122:123]
	v_mul_f64 v[82:83], v[37:38], v[122:123]
	scratch_store_b128 off, v[112:115], off offset:140 ; 16-byte Folded Spill
	v_fma_f64 v[1:2], v[1:2], v[84:85], v[41:42]
	v_fma_f64 v[3:4], v[3:4], v[84:85], -v[43:44]
	v_fma_f64 v[5:6], v[5:6], v[88:89], v[45:46]
	v_fma_f64 v[7:8], v[7:8], v[88:89], -v[47:48]
	;; [unrolled: 2-line block ×10, first 2 shown]
	ds_store_b128 v255, v[1:4]
	ds_store_b128 v255, v[5:8] offset:1360
	ds_store_b128 v255, v[9:12] offset:2720
	;; [unrolled: 1-line block ×9, first 2 shown]
	s_waitcnt lgkmcnt(0)
	s_waitcnt_vscnt null, 0x0
	s_barrier
	buffer_gl0_inv
	ds_load_b128 v[1:4], v255 offset:4080
	ds_load_b128 v[5:8], v255 offset:6800
	;; [unrolled: 1-line block ×5, first 2 shown]
	s_waitcnt lgkmcnt(3)
	v_add_f64 v[65:66], v[1:2], -v[5:6]
	s_waitcnt lgkmcnt(2)
	v_add_f64 v[21:22], v[5:6], v[9:10]
	s_waitcnt lgkmcnt(1)
	v_add_f64 v[23:24], v[3:4], v[15:16]
	v_add_f64 v[25:26], v[1:2], v[13:14]
	;; [unrolled: 1-line block ×3, first 2 shown]
	v_add_f64 v[41:42], v[3:4], -v[15:16]
	v_add_f64 v[45:46], v[5:6], -v[9:10]
	;; [unrolled: 1-line block ×11, first 2 shown]
	s_waitcnt lgkmcnt(0)
	v_add_f64 v[1:2], v[17:18], v[1:2]
	v_add_f64 v[3:4], v[19:20], v[3:4]
	v_fma_f64 v[47:48], v[21:22], -0.5, v[17:18]
	v_fma_f64 v[49:50], v[23:24], -0.5, v[19:20]
	;; [unrolled: 1-line block ×4, first 2 shown]
	ds_load_b128 v[21:24], v255 offset:2720
	ds_load_b128 v[25:28], v255 offset:5440
	;; [unrolled: 1-line block ×4, first 2 shown]
	ds_load_b128 v[37:40], v255
	s_waitcnt lgkmcnt(0)
	s_barrier
	buffer_gl0_inv
	v_add_f64 v[1:2], v[1:2], v[5:6]
	v_add_f64 v[3:4], v[3:4], v[7:8]
	;; [unrolled: 1-line block ×8, first 2 shown]
	v_add_f64 v[94:95], v[23:24], -v[35:36]
	v_add_f64 v[96:97], v[27:28], -v[31:32]
	;; [unrolled: 1-line block ×4, first 2 shown]
	v_fma_f64 v[82:83], v[41:42], s[8:9], v[47:48]
	v_fma_f64 v[84:85], v[45:46], s[8:9], v[49:50]
	;; [unrolled: 1-line block ×8, first 2 shown]
	v_add_f64 v[1:2], v[1:2], v[9:10]
	v_add_f64 v[3:4], v[3:4], v[11:12]
	v_fma_f64 v[17:18], v[57:58], -0.5, v[37:38]
	v_fma_f64 v[37:38], v[59:60], -0.5, v[37:38]
	;; [unrolled: 1-line block ×4, first 2 shown]
	v_add_f64 v[59:60], v[65:66], v[67:68]
	v_add_f64 v[63:64], v[76:77], v[78:79]
	;; [unrolled: 1-line block ×3, first 2 shown]
	v_add_f64 v[78:79], v[23:24], -v[27:28]
	v_add_f64 v[23:24], v[27:28], -v[23:24]
	v_add_f64 v[27:28], v[98:99], v[27:28]
	v_add_f64 v[74:75], v[33:34], -v[29:30]
	v_add_f64 v[76:77], v[29:30], -v[33:34]
	v_fma_f64 v[65:66], v[43:44], s[2:3], v[82:83]
	v_fma_f64 v[67:68], v[53:54], s[12:13], v[84:85]
	;; [unrolled: 1-line block ×6, first 2 shown]
	v_add_f64 v[47:48], v[80:81], v[88:89]
	v_fma_f64 v[51:52], v[45:46], s[2:3], v[90:91]
	v_add_f64 v[53:54], v[21:22], -v[25:26]
	v_add_f64 v[21:22], v[25:26], -v[21:22]
	v_add_f64 v[25:26], v[92:93], v[25:26]
	v_add_f64 v[80:81], v[35:36], -v[31:32]
	v_add_f64 v[82:83], v[31:32], -v[35:36]
	v_fma_f64 v[45:46], v[45:46], s[12:13], v[55:56]
	v_add_f64 v[13:14], v[1:2], v[13:14]
	v_add_f64 v[15:16], v[3:4], v[15:16]
	v_and_b32_e32 v1, 0xff, v0
	v_fma_f64 v[5:6], v[94:95], s[8:9], v[17:18]
	v_fma_f64 v[7:8], v[94:95], s[14:15], v[17:18]
	;; [unrolled: 1-line block ×8, first 2 shown]
	v_add_f64 v[27:28], v[27:28], v[31:32]
	v_fma_f64 v[55:56], v[59:60], s[16:17], v[65:66]
	v_fma_f64 v[65:66], v[63:64], s[16:17], v[67:68]
	;; [unrolled: 1-line block ×7, first 2 shown]
	v_add_f64 v[53:54], v[53:54], v[74:75]
	v_add_f64 v[21:22], v[21:22], v[76:77]
	;; [unrolled: 1-line block ×5, first 2 shown]
	v_fma_f64 v[5:6], v[96:97], s[2:3], v[5:6]
	v_fma_f64 v[7:8], v[96:97], s[12:13], v[7:8]
	;; [unrolled: 1-line block ×9, first 2 shown]
	v_add_f64 v[27:28], v[27:28], v[35:36]
	v_mul_f64 v[39:40], v[55:56], s[18:19]
	v_mul_f64 v[45:46], v[65:66], s[8:9]
	;; [unrolled: 1-line block ×8, first 2 shown]
	v_add_f64 v[25:26], v[25:26], v[33:34]
	v_fma_f64 v[33:34], v[53:54], s[16:17], v[5:6]
	v_fma_f64 v[35:36], v[53:54], s[16:17], v[7:8]
	;; [unrolled: 1-line block ×8, first 2 shown]
	v_add_f64 v[3:4], v[27:28], v[15:16]
	v_add_f64 v[7:8], v[27:28], -v[15:16]
	v_fma_f64 v[29:30], v[37:38], s[2:3], v[39:40]
	v_fma_f64 v[31:32], v[41:42], s[16:17], v[45:46]
	;; [unrolled: 1-line block ×3, first 2 shown]
	v_fma_f64 v[39:40], v[49:50], s[8:9], -v[47:48]
	v_fma_f64 v[47:48], v[65:66], s[16:17], v[61:62]
	v_fma_f64 v[49:50], v[67:68], s[14:15], -v[63:64]
	v_fma_f64 v[41:42], v[51:52], s[2:3], -v[57:58]
	;; [unrolled: 1-line block ×3, first 2 shown]
	v_mul_lo_u16 v52, 0xcd, v1
	v_add_nc_u16 v51, v0, 0x55
	v_add_f64 v[1:2], v[25:26], v[13:14]
	v_add_f64 v[5:6], v[25:26], -v[13:14]
	s_delay_alu instid0(VALU_DEP_4) | instskip(NEXT) | instid1(VALU_DEP_4)
	v_lshrrev_b16 v144, 11, v52
	v_and_b32_e32 v55, 0xff, v51
	v_add_f64 v[9:10], v[33:34], v[29:30]
	v_add_f64 v[13:14], v[53:54], v[31:32]
	;; [unrolled: 1-line block ×8, first 2 shown]
	v_add_f64 v[25:26], v[33:34], -v[29:30]
	v_add_f64 v[27:28], v[76:77], -v[45:46]
	;; [unrolled: 1-line block ×8, first 2 shown]
	v_mul_lo_u16 v41, 0xcd, v55
	v_mul_lo_u16 v42, v144, 10
	s_delay_alu instid0(VALU_DEP_2) | instskip(SKIP_1) | instid1(VALU_DEP_3)
	v_lshrrev_b16 v145, 11, v41
	v_mul_lo_u16 v41, v0, 10
	v_sub_nc_u16 v42, v0, v42
	s_delay_alu instid0(VALU_DEP_3) | instskip(NEXT) | instid1(VALU_DEP_3)
	v_mul_lo_u16 v43, v145, 10
	v_and_b32_e32 v41, 0xffff, v41
	s_delay_alu instid0(VALU_DEP_3) | instskip(NEXT) | instid1(VALU_DEP_3)
	v_and_b32_e32 v146, 0xff, v42
	v_sub_nc_u16 v42, v51, v43
	s_delay_alu instid0(VALU_DEP_3) | instskip(NEXT) | instid1(VALU_DEP_3)
	v_lshlrev_b32_e32 v220, 4, v41
	v_lshlrev_b32_e32 v41, 6, v146
	ds_store_b128 v220, v[1:4]
	ds_store_b128 v220, v[9:12] offset:16
	ds_store_b128 v220, v[13:16] offset:32
	ds_store_b128 v220, v[17:20] offset:48
	ds_store_b128 v220, v[21:24] offset:64
	ds_store_b128 v220, v[5:8] offset:80
	ds_store_b128 v220, v[25:28] offset:96
	ds_store_b128 v220, v[29:32] offset:112
	ds_store_b128 v220, v[33:36] offset:128
	ds_store_b128 v220, v[37:40] offset:144
	v_and_b32_e32 v147, 0xff, v42
	s_waitcnt lgkmcnt(0)
	s_barrier
	buffer_gl0_inv
	s_clause 0x2
	global_load_b128 v[84:87], v41, s[10:11]
	global_load_b128 v[76:79], v41, s[10:11] offset:16
	global_load_b128 v[72:75], v41, s[10:11] offset:32
	v_lshlrev_b32_e32 v1, 6, v147
	s_clause 0x4
	global_load_b128 v[80:83], v41, s[10:11] offset:48
	global_load_b128 v[92:95], v1, s[10:11]
	global_load_b128 v[104:107], v1, s[10:11] offset:16
	global_load_b128 v[100:103], v1, s[10:11] offset:32
	;; [unrolled: 1-line block ×3, first 2 shown]
	ds_load_b128 v[1:4], v255 offset:2720
	ds_load_b128 v[5:8], v255 offset:5440
	;; [unrolled: 1-line block ×8, first 2 shown]
	s_waitcnt vmcnt(7) lgkmcnt(7)
	v_mul_f64 v[33:34], v[3:4], v[86:87]
	s_waitcnt vmcnt(6) lgkmcnt(6)
	v_mul_f64 v[35:36], v[7:8], v[78:79]
	;; [unrolled: 2-line block ×3, first 2 shown]
	v_mul_f64 v[39:40], v[1:2], v[86:87]
	s_waitcnt vmcnt(4) lgkmcnt(4)
	v_mul_f64 v[41:42], v[15:16], v[82:83]
	v_mul_f64 v[43:44], v[5:6], v[78:79]
	;; [unrolled: 1-line block ×4, first 2 shown]
	s_waitcnt vmcnt(3) lgkmcnt(3)
	v_mul_f64 v[49:50], v[19:20], v[94:95]
	s_waitcnt vmcnt(2) lgkmcnt(2)
	v_mul_f64 v[51:52], v[23:24], v[106:107]
	;; [unrolled: 2-line block ×3, first 2 shown]
	v_mul_f64 v[55:56], v[21:22], v[106:107]
	s_waitcnt vmcnt(0) lgkmcnt(0)
	v_mul_f64 v[57:58], v[31:32], v[98:99]
	v_mul_f64 v[59:60], v[25:26], v[102:103]
	;; [unrolled: 1-line block ×4, first 2 shown]
	v_fma_f64 v[33:34], v[1:2], v[84:85], -v[33:34]
	v_fma_f64 v[35:36], v[5:6], v[76:77], -v[35:36]
	;; [unrolled: 1-line block ×3, first 2 shown]
	v_fma_f64 v[37:38], v[3:4], v[84:85], v[39:40]
	v_fma_f64 v[13:14], v[13:14], v[80:81], -v[41:42]
	v_fma_f64 v[39:40], v[7:8], v[76:77], v[43:44]
	v_fma_f64 v[11:12], v[11:12], v[72:73], v[45:46]
	;; [unrolled: 1-line block ×3, first 2 shown]
	v_fma_f64 v[17:18], v[17:18], v[92:93], -v[49:50]
	v_fma_f64 v[21:22], v[21:22], v[104:105], -v[51:52]
	;; [unrolled: 1-line block ×3, first 2 shown]
	v_fma_f64 v[23:24], v[23:24], v[104:105], v[55:56]
	v_fma_f64 v[29:30], v[29:30], v[96:97], -v[57:58]
	v_fma_f64 v[27:28], v[27:28], v[100:101], v[59:60]
	v_fma_f64 v[19:20], v[19:20], v[92:93], v[61:62]
	;; [unrolled: 1-line block ×3, first 2 shown]
	ds_load_b128 v[1:4], v255
	ds_load_b128 v[5:8], v255 offset:1360
	s_waitcnt lgkmcnt(0)
	s_barrier
	buffer_gl0_inv
	v_add_f64 v[57:58], v[1:2], v[33:34]
	v_add_f64 v[41:42], v[35:36], v[9:10]
	v_add_f64 v[63:64], v[3:4], v[37:38]
	v_add_f64 v[43:44], v[33:34], v[13:14]
	v_add_f64 v[88:89], v[33:34], -v[13:14]
	v_add_f64 v[45:46], v[39:40], v[11:12]
	v_add_f64 v[47:48], v[37:38], v[15:16]
	v_add_f64 v[59:60], v[37:38], -v[15:16]
	v_add_f64 v[61:62], v[39:40], -v[11:12]
	v_add_f64 v[49:50], v[21:22], v[25:26]
	v_add_f64 v[65:66], v[5:6], v[17:18]
	;; [unrolled: 1-line block ×6, first 2 shown]
	v_add_f64 v[90:91], v[19:20], -v[31:32]
	v_add_f64 v[108:109], v[17:18], -v[29:30]
	;; [unrolled: 1-line block ×16, first 2 shown]
	v_fma_f64 v[41:42], v[41:42], -0.5, v[1:2]
	v_add_f64 v[39:40], v[63:64], v[39:40]
	v_fma_f64 v[1:2], v[43:44], -0.5, v[1:2]
	v_add_f64 v[43:44], v[35:36], -v[9:10]
	v_fma_f64 v[45:46], v[45:46], -0.5, v[3:4]
	v_fma_f64 v[3:4], v[47:48], -0.5, v[3:4]
	v_add_f64 v[47:48], v[23:24], -v[27:28]
	v_fma_f64 v[49:50], v[49:50], -0.5, v[5:6]
	;; [unrolled: 3-line block ×3, first 2 shown]
	v_fma_f64 v[7:8], v[55:56], -0.5, v[7:8]
	v_add_f64 v[55:56], v[33:34], -v[35:36]
	v_add_f64 v[33:34], v[35:36], -v[33:34]
	v_add_f64 v[35:36], v[57:58], v[35:36]
	v_add_f64 v[21:22], v[65:66], v[21:22]
	;; [unrolled: 1-line block ×6, first 2 shown]
	v_fma_f64 v[57:58], v[59:60], s[8:9], v[41:42]
	v_fma_f64 v[41:42], v[59:60], s[14:15], v[41:42]
	;; [unrolled: 1-line block ×16, first 2 shown]
	v_add_f64 v[110:111], v[55:56], v[110:111]
	v_add_f64 v[33:34], v[33:34], v[112:113]
	;; [unrolled: 1-line block ×9, first 2 shown]
	v_fma_f64 v[25:26], v[61:62], s[2:3], v[57:58]
	v_fma_f64 v[27:28], v[61:62], s[12:13], v[41:42]
	;; [unrolled: 1-line block ×16, first 2 shown]
	s_load_b64 s[2:3], s[0:1], 0x38
	v_add_f64 v[164:165], v[9:10], v[13:14]
	v_add_f64 v[166:167], v[11:12], v[15:16]
	;; [unrolled: 1-line block ×4, first 2 shown]
	v_fma_f64 v[124:125], v[110:111], s[16:17], v[25:26]
	v_fma_f64 v[136:137], v[110:111], s[16:17], v[27:28]
	;; [unrolled: 1-line block ×16, first 2 shown]
	v_and_b32_e32 v1, 0xffff, v144
	v_and_b32_e32 v2, 0xffff, v145
                                        ; implicit-def: $vgpr144_vgpr145
	s_delay_alu instid0(VALU_DEP_2) | instskip(NEXT) | instid1(VALU_DEP_2)
	v_mul_u32_u24_e32 v1, 50, v1
	v_mul_u32_u24_e32 v2, 50, v2
	s_delay_alu instid0(VALU_DEP_2) | instskip(NEXT) | instid1(VALU_DEP_2)
	v_add_lshl_u32 v117, v1, v146, 4
	v_add_lshl_u32 v116, v2, v147, 4
	ds_store_b128 v117, v[164:167]
	ds_store_b128 v117, v[124:127] offset:160
	ds_store_b128 v117, v[128:131] offset:320
	;; [unrolled: 1-line block ×4, first 2 shown]
	ds_store_b128 v116, v[56:59]
	ds_store_b128 v116, v[64:67] offset:160
	ds_store_b128 v116, v[88:91] offset:320
	ds_store_b128 v116, v[140:143] offset:480
	ds_store_b128 v116, v[60:63] offset:640
	s_waitcnt lgkmcnt(0)
	s_barrier
	buffer_gl0_inv
	s_and_saveexec_b32 s0, vcc_lo
	s_cbranch_execz .LBB0_3
; %bb.2:
	ds_load_b128 v[164:167], v255
	ds_load_b128 v[124:127], v255 offset:800
	ds_load_b128 v[128:131], v255 offset:1600
	;; [unrolled: 1-line block ×16, first 2 shown]
.LBB0_3:
	s_or_b32 exec_lo, exec_lo, s0
	v_add_co_u32 v0, s0, 0xfffffce0, v255
	s_delay_alu instid0(VALU_DEP_1) | instskip(SKIP_1) | instid1(VALU_DEP_2)
	v_add_co_ci_u32_e64 v1, null, 0, -1, s0
	s_mov_b32 s36, 0x5d8e7cdc
	v_cndmask_b32_e32 v0, v0, v255, vcc_lo
	s_mov_b32 s37, 0xbfd71e95
	s_delay_alu instid0(VALU_DEP_2)
	v_cndmask_b32_e64 v1, v1, 0, vcc_lo
	s_mov_b32 s8, 0x370991
	s_mov_b32 s38, 0x2a9d6da3
	;; [unrolled: 1-line block ×4, first 2 shown]
	v_lshlrev_b64 v[0:1], 4, v[0:1]
	s_mov_b32 s40, 0x7c9e640b
	s_mov_b32 s41, 0xbfeca52d
	;; [unrolled: 1-line block ×5, first 2 shown]
	v_add_co_u32 v0, s0, s10, v0
	s_delay_alu instid0(VALU_DEP_1)
	v_add_co_ci_u32_e64 v1, s0, s11, v1, s0
	s_mov_b32 s10, 0x75d4884
	s_mov_b32 s11, 0x3fe7a5f6
	;; [unrolled: 1-line block ×3, first 2 shown]
	s_clause 0x8
	global_load_b128 v[112:115], v[0:1], off offset:640
	global_load_b128 v[30:33], v[0:1], off offset:880
	;; [unrolled: 1-line block ×9, first 2 shown]
	s_mov_b32 s0, 0x3259b75e
	s_mov_b32 s1, 0x3fb79ee6
	;; [unrolled: 1-line block ×34, first 2 shown]
	s_waitcnt vmcnt(8) lgkmcnt(15)
	v_mul_f64 v[2:3], v[124:125], v[114:115]
	v_mul_f64 v[4:5], v[126:127], v[114:115]
	s_waitcnt vmcnt(7) lgkmcnt(0)
	v_mul_f64 v[6:7], v[172:173], v[32:33]
	v_mul_f64 v[8:9], v[174:175], v[32:33]
	s_waitcnt vmcnt(6)
	s_clause 0x1
	scratch_store_b128 off, v[22:25], off offset:236
	scratch_store_b128 off, v[30:33], off offset:268
	s_waitcnt vmcnt(5)
	scratch_store_b128 off, v[26:29], off offset:252 ; 16-byte Folded Spill
	s_waitcnt vmcnt(3)
	scratch_store_b128 off, v[10:13], off offset:188 ; 16-byte Folded Spill
	;; [unrolled: 2-line block ×5, first 2 shown]
	v_fma_f64 v[110:111], v[126:127], v[112:113], v[2:3]
	v_fma_f64 v[108:109], v[124:125], v[112:113], -v[4:5]
	v_mul_f64 v[2:3], v[130:131], v[24:25]
	v_mul_f64 v[4:5], v[128:129], v[24:25]
	v_fma_f64 v[118:119], v[174:175], v[30:31], v[6:7]
	v_fma_f64 v[52:53], v[172:173], v[30:31], -v[8:9]
	v_mul_f64 v[6:7], v[168:169], v[28:29]
	v_mul_f64 v[8:9], v[170:171], v[28:29]
	v_fma_f64 v[40:41], v[128:129], v[22:23], -v[2:3]
	v_fma_f64 v[42:43], v[130:131], v[22:23], v[4:5]
	v_mul_f64 v[4:5], v[132:133], v[192:193]
	v_mul_f64 v[2:3], v[134:135], v[192:193]
	v_fma_f64 v[22:23], v[170:171], v[26:27], v[6:7]
	v_fma_f64 v[128:129], v[168:169], v[26:27], -v[8:9]
	v_mul_f64 v[6:7], v[162:163], v[12:13]
	v_mul_f64 v[8:9], v[160:161], v[12:13]
	v_add_f64 v[26:27], v[108:109], v[52:53]
	v_add_f64 v[231:232], v[108:109], -v[52:53]
	v_add_f64 v[204:205], v[110:111], v[118:119]
	v_fma_f64 v[46:47], v[134:135], v[190:191], v[4:5]
	v_mul_f64 v[4:5], v[136:137], v[16:17]
	v_fma_f64 v[44:45], v[132:133], v[190:191], -v[2:3]
	v_mul_f64 v[2:3], v[138:139], v[16:17]
	v_fma_f64 v[24:25], v[160:161], v[10:11], -v[6:7]
	v_fma_f64 v[28:29], v[162:163], v[10:11], v[8:9]
	global_load_b128 v[10:13], v[0:1], off offset:720
	v_mul_f64 v[6:7], v[156:157], v[20:21]
	v_mul_f64 v[8:9], v[158:159], v[20:21]
	v_add_f64 v[182:183], v[42:43], -v[22:23]
	v_add_f64 v[180:181], v[40:41], -v[128:129]
	v_mul_f64 v[196:197], v[231:232], s[38:39]
	v_mul_f64 v[210:211], v[231:232], s[40:41]
	v_mul_f64 v[186:187], v[231:232], s[26:27]
	v_fma_f64 v[50:51], v[138:139], v[14:15], v[4:5]
	v_mul_f64 v[4:5], v[56:57], v[36:37]
	v_fma_f64 v[48:49], v[136:137], v[14:15], -v[2:3]
	v_mul_f64 v[2:3], v[58:59], v[36:37]
	v_add_f64 v[247:248], v[46:47], v[28:29]
	v_fma_f64 v[30:31], v[158:159], v[18:19], v[6:7]
	v_fma_f64 v[18:19], v[156:157], v[18:19], -v[8:9]
	v_add_f64 v[8:9], v[46:47], -v[28:29]
	v_mul_f64 v[194:195], v[182:183], s[16:17]
	v_mul_f64 v[214:215], v[182:183], s[44:45]
	;; [unrolled: 1-line block ×3, first 2 shown]
	v_fma_f64 v[70:71], v[58:59], v[34:35], v[4:5]
	s_clause 0x1
	global_load_b128 v[120:123], v[0:1], off offset:816
	global_load_b128 v[4:7], v[0:1], off offset:800
	v_fma_f64 v[68:69], v[56:57], v[34:35], -v[2:3]
	v_add_f64 v[34:35], v[110:111], -v[118:119]
	v_add_f64 v[253:254], v[50:51], v[30:31]
	v_add_f64 v[176:177], v[48:49], v[18:19]
	v_mul_f64 v[233:234], v[8:9], s[36:37]
	s_delay_alu instid0(VALU_DEP_4)
	v_mul_f64 v[178:179], v[34:35], s[38:39]
	v_mul_f64 v[235:236], v[34:35], s[40:41]
	;; [unrolled: 1-line block ×3, first 2 shown]
	s_waitcnt vmcnt(2)
	scratch_store_b128 off, v[10:13], off offset:300 ; 16-byte Folded Spill
	s_clause 0x1
	global_load_b128 v[132:135], v[0:1], off offset:736
	global_load_b128 v[136:139], v[0:1], off offset:752
	s_waitcnt vmcnt(3)
	v_mul_f64 v[2:3], v[154:155], v[122:123]
	s_waitcnt vmcnt(2)
	scratch_store_b128 off, v[4:7], off offset:316 ; 16-byte Folded Spill
	v_fma_f64 v[20:21], v[152:153], v[120:121], -v[2:3]
	v_mul_f64 v[2:3], v[152:153], v[122:123]
	s_delay_alu instid0(VALU_DEP_2) | instskip(NEXT) | instid1(VALU_DEP_2)
	v_add_f64 v[174:175], v[68:69], v[20:21]
	v_fma_f64 v[32:33], v[154:155], v[120:121], v[2:3]
	v_mul_f64 v[2:3], v[64:65], v[12:13]
	s_delay_alu instid0(VALU_DEP_2) | instskip(NEXT) | instid1(VALU_DEP_2)
	v_add_f64 v[168:169], v[70:71], -v[32:33]
	v_fma_f64 v[124:125], v[66:67], v[10:11], v[2:3]
	v_mul_f64 v[2:3], v[66:67], v[12:13]
	v_mul_f64 v[12:13], v[8:9], s[40:41]
	s_delay_alu instid0(VALU_DEP_4) | instskip(SKIP_1) | instid1(VALU_DEP_4)
	v_mul_f64 v[237:238], v[168:169], s[28:29]
	v_mul_f64 v[218:219], v[168:169], s[36:37]
	v_fma_f64 v[126:127], v[64:65], v[10:11], -v[2:3]
	v_add_f64 v[10:11], v[42:43], v[22:23]
	s_waitcnt vmcnt(1)
	v_mul_f64 v[2:3], v[90:91], v[134:135]
	s_delay_alu instid0(VALU_DEP_1) | instskip(SKIP_1) | instid1(VALU_DEP_1)
	v_fma_f64 v[66:67], v[88:89], v[132:133], -v[2:3]
	v_mul_f64 v[2:3], v[88:89], v[134:135]
	v_fma_f64 v[88:89], v[90:91], v[132:133], v[2:3]
	s_waitcnt vmcnt(0)
	v_mul_f64 v[2:3], v[142:143], v[138:139]
	s_delay_alu instid0(VALU_DEP_1) | instskip(SKIP_1) | instid1(VALU_DEP_1)
	v_fma_f64 v[54:55], v[140:141], v[136:137], -v[2:3]
	v_mul_f64 v[2:3], v[140:141], v[138:139]
	v_fma_f64 v[56:57], v[142:143], v[136:137], v[2:3]
	v_mul_f64 v[2:3], v[144:145], v[6:7]
	s_delay_alu instid0(VALU_DEP_1) | instskip(SKIP_2) | instid1(VALU_DEP_3)
	v_fma_f64 v[36:37], v[146:147], v[4:5], v[2:3]
	v_mul_f64 v[2:3], v[146:147], v[6:7]
	v_mul_f64 v[6:7], v[180:181], s[38:39]
	v_add_f64 v[223:224], v[124:125], -v[36:37]
	s_delay_alu instid0(VALU_DEP_3)
	v_fma_f64 v[38:39], v[144:145], v[4:5], -v[2:3]
	s_clause 0x1
	global_load_b128 v[140:143], v[0:1], off offset:768
	global_load_b128 v[144:147], v[0:1], off offset:784
	v_add_f64 v[2:3], v[40:41], v[128:129]
	v_mul_f64 v[4:5], v[182:183], s[38:39]
	v_mul_f64 v[200:201], v[223:224], s[28:29]
	v_mul_f64 v[208:209], v[223:224], s[38:39]
	scratch_store_b64 off, v[4:5], off offset:644 ; 8-byte Folded Spill
	v_fma_f64 v[4:5], v[2:3], s[10:11], v[4:5]
	s_waitcnt vmcnt(1)
	v_mul_f64 v[0:1], v[62:63], v[142:143]
	s_delay_alu instid0(VALU_DEP_1) | instskip(SKIP_1) | instid1(VALU_DEP_2)
	v_fma_f64 v[64:65], v[60:61], v[140:141], -v[0:1]
	v_mul_f64 v[0:1], v[60:61], v[142:143]
	v_add_f64 v[221:222], v[54:55], v[64:65]
	s_delay_alu instid0(VALU_DEP_2) | instskip(SKIP_3) | instid1(VALU_DEP_3)
	v_fma_f64 v[62:63], v[62:63], v[140:141], v[0:1]
	s_waitcnt vmcnt(0)
	v_mul_f64 v[0:1], v[150:151], v[146:147]
	v_add_f64 v[172:173], v[54:55], -v[64:65]
	v_add_f64 v[225:226], v[56:57], -v[62:63]
	s_delay_alu instid0(VALU_DEP_3) | instskip(SKIP_2) | instid1(VALU_DEP_3)
	v_fma_f64 v[58:59], v[148:149], v[144:145], -v[0:1]
	v_mul_f64 v[0:1], v[148:149], v[146:147]
	v_add_f64 v[227:228], v[56:57], v[62:63]
	v_add_f64 v[243:244], v[66:67], v[58:59]
	s_delay_alu instid0(VALU_DEP_3) | instskip(SKIP_2) | instid1(VALU_DEP_3)
	v_fma_f64 v[60:61], v[150:151], v[144:145], v[0:1]
	v_mul_f64 v[0:1], v[34:35], s[36:37]
	v_add_f64 v[170:171], v[66:67], -v[58:59]
	v_add_f64 v[249:250], v[88:89], -v[60:61]
	scratch_store_b64 off, v[0:1], off offset:804 ; 8-byte Folded Spill
	v_fma_f64 v[0:1], v[26:27], s[8:9], v[0:1]
	s_clause 0x3
	scratch_store_b64 off, v[108:109], off offset:532
	scratch_store_b64 off, v[52:53], off offset:1124
	;; [unrolled: 1-line block ×4, first 2 shown]
	v_add_f64 v[251:252], v[88:89], v[60:61]
	v_mul_f64 v[118:119], v[8:9], s[26:27]
	v_mul_f64 v[108:109], v[182:183], s[48:49]
	v_add_f64 v[0:1], v[164:165], v[0:1]
	s_delay_alu instid0(VALU_DEP_1)
	v_add_f64 v[0:1], v[4:5], v[0:1]
	v_mul_f64 v[4:5], v[231:232], s[36:37]
	scratch_store_b64 off, v[4:5], off offset:892 ; 8-byte Folded Spill
	v_fma_f64 v[4:5], v[204:205], s[8:9], -v[4:5]
	s_clause 0x5
	scratch_store_b64 off, v[40:41], off offset:404
	scratch_store_b64 off, v[128:129], off offset:820
	;; [unrolled: 1-line block ×6, first 2 shown]
	v_fma_f64 v[6:7], v[10:11], s[10:11], -v[6:7]
	s_clause 0x3
	scratch_store_b64 off, v[24:25], off offset:340
	scratch_store_b64 off, v[44:45], off offset:420
	;; [unrolled: 1-line block ×4, first 2 shown]
	v_add_f64 v[28:29], v[70:71], v[32:33]
	v_add_f64 v[22:23], v[126:127], v[38:39]
	;; [unrolled: 1-line block ×3, first 2 shown]
	s_delay_alu instid0(VALU_DEP_1) | instskip(SKIP_1) | instid1(VALU_DEP_1)
	v_add_f64 v[6:7], v[6:7], v[4:5]
	v_add_f64 v[4:5], v[44:45], v[24:25]
	v_fma_f64 v[12:13], v[4:5], s[14:15], v[12:13]
	s_delay_alu instid0(VALU_DEP_1) | instskip(SKIP_3) | instid1(VALU_DEP_3)
	v_add_f64 v[14:15], v[12:13], v[0:1]
	v_add_f64 v[12:13], v[44:45], -v[24:25]
	v_add_f64 v[24:25], v[68:69], -v[20:21]
	v_mul_f64 v[44:45], v[34:35], s[16:17]
	v_mul_f64 v[0:1], v[12:13], s[40:41]
	s_delay_alu instid0(VALU_DEP_3) | instskip(SKIP_4) | instid1(VALU_DEP_1)
	v_mul_f64 v[202:203], v[24:25], s[50:51]
	v_mul_f64 v[206:207], v[12:13], s[36:37]
	;; [unrolled: 1-line block ×3, first 2 shown]
	scratch_store_b64 off, v[0:1], off offset:668 ; 8-byte Folded Spill
	v_fma_f64 v[0:1], v[247:248], s[14:15], -v[0:1]
	v_add_f64 v[6:7], v[0:1], v[6:7]
	v_add_f64 v[0:1], v[50:51], -v[30:31]
	s_delay_alu instid0(VALU_DEP_1)
	v_mul_f64 v[16:17], v[0:1], s[16:17]
	v_mul_f64 v[110:111], v[0:1], s[40:41]
	;; [unrolled: 1-line block ×4, first 2 shown]
	scratch_store_b64 off, v[16:17], off offset:636 ; 8-byte Folded Spill
	v_fma_f64 v[16:17], v[176:177], s[0:1], v[16:17]
	s_clause 0x1
	scratch_store_b64 off, v[18:19], off offset:356
	scratch_store_b64 off, v[48:49], off offset:436
	v_add_f64 v[18:19], v[48:49], -v[18:19]
	s_clause 0x1
	scratch_store_b64 off, v[30:31], off offset:364
	scratch_store_b64 off, v[50:51], off offset:444
	v_mul_f64 v[48:49], v[231:232], s[16:17]
	v_mul_f64 v[50:51], v[34:35], s[22:23]
	;; [unrolled: 1-line block ×3, first 2 shown]
	v_add_f64 v[14:15], v[16:17], v[14:15]
	v_mul_f64 v[16:17], v[18:19], s[16:17]
	v_mul_f64 v[239:240], v[18:19], s[34:35]
	scratch_store_b64 off, v[16:17], off offset:684 ; 8-byte Folded Spill
	v_fma_f64 v[16:17], v[253:254], s[0:1], -v[16:17]
	s_delay_alu instid0(VALU_DEP_1)
	v_add_f64 v[6:7], v[16:17], v[6:7]
	v_mul_f64 v[16:17], v[168:169], s[22:23]
	scratch_store_b64 off, v[16:17], off offset:628 ; 8-byte Folded Spill
	v_fma_f64 v[16:17], v[174:175], s[18:19], v[16:17]
	s_clause 0x3
	scratch_store_b64 off, v[20:21], off offset:372
	scratch_store_b64 off, v[68:69], off offset:484
	;; [unrolled: 1-line block ×4, first 2 shown]
	v_add_f64 v[32:33], v[124:125], v[36:37]
	v_mul_f64 v[20:21], v[231:232], s[22:23]
	v_mul_f64 v[70:71], v[12:13], s[42:43]
	;; [unrolled: 1-line block ×3, first 2 shown]
	v_add_f64 v[14:15], v[16:17], v[14:15]
	v_mul_f64 v[16:17], v[24:25], s[22:23]
	scratch_store_b64 off, v[16:17], off offset:724 ; 8-byte Folded Spill
	v_fma_f64 v[16:17], v[28:29], s[18:19], -v[16:17]
	s_delay_alu instid0(VALU_DEP_1)
	v_add_f64 v[6:7], v[16:17], v[6:7]
	v_mul_f64 v[16:17], v[223:224], s[26:27]
	scratch_store_b64 off, v[16:17], off offset:708 ; 8-byte Folded Spill
	v_fma_f64 v[16:17], v[22:23], s[20:21], v[16:17]
	s_clause 0x1
	scratch_store_b64 off, v[38:39], off offset:396
	scratch_store_b64 off, v[126:127], off offset:588
	v_add_f64 v[38:39], v[126:127], -v[38:39]
	s_clause 0x1
	scratch_store_b64 off, v[36:37], off offset:388
	scratch_store_b64 off, v[124:125], off offset:580
	v_mul_f64 v[36:37], v[24:25], s[40:41]
	v_add_f64 v[14:15], v[16:17], v[14:15]
	v_mul_f64 v[16:17], v[38:39], s[26:27]
	v_mul_f64 v[229:230], v[38:39], s[34:35]
	;; [unrolled: 1-line block ×3, first 2 shown]
	scratch_store_b64 off, v[16:17], off offset:732 ; 8-byte Folded Spill
	v_fma_f64 v[16:17], v[32:33], s[20:21], -v[16:17]
	s_delay_alu instid0(VALU_DEP_1)
	v_add_f64 v[6:7], v[16:17], v[6:7]
	v_mul_f64 v[16:17], v[249:250], s[34:35]
	scratch_store_b64 off, v[16:17], off offset:596 ; 8-byte Folded Spill
	v_fma_f64 v[16:17], v[243:244], s[24:25], v[16:17]
	s_clause 0x3
	scratch_store_b64 off, v[58:59], off offset:468
	scratch_store_b64 off, v[66:67], off offset:548
	;; [unrolled: 1-line block ×4, first 2 shown]
	v_mul_f64 v[60:61], v[8:9], s[42:43]
	v_mul_f64 v[66:67], v[18:19], s[40:41]
	;; [unrolled: 1-line block ×4, first 2 shown]
	v_add_f64 v[14:15], v[16:17], v[14:15]
	v_mul_f64 v[16:17], v[170:171], s[34:35]
	scratch_store_b64 off, v[16:17], off offset:612 ; 8-byte Folded Spill
	v_fma_f64 v[16:17], v[251:252], s[24:25], -v[16:17]
	s_delay_alu instid0(VALU_DEP_1)
	v_add_f64 v[6:7], v[16:17], v[6:7]
	v_mul_f64 v[16:17], v[225:226], s[50:51]
	scratch_store_b64 off, v[16:17], off offset:516 ; 8-byte Folded Spill
	v_fma_f64 v[16:17], v[221:222], s[12:13], v[16:17]
	s_clause 0x3
	scratch_store_b64 off, v[54:55], off offset:452
	scratch_store_b64 off, v[64:65], off offset:500
	;; [unrolled: 1-line block ×4, first 2 shown]
	v_mul_f64 v[62:63], v[180:181], s[48:49]
	v_mul_f64 v[64:65], v[168:169], s[50:51]
	v_mul_f64 v[56:57], v[38:39], s[28:29]
	v_mul_f64 v[54:55], v[249:250], s[36:37]
	v_add_f64 v[40:41], v[16:17], v[14:15]
	v_mul_f64 v[14:15], v[172:173], s[50:51]
	v_mul_f64 v[16:17], v[180:181], s[16:17]
	s_clause 0x1
	scratch_store_b64 off, v[14:15], off offset:524
	scratch_store_b64 off, v[16:17], off offset:836
	v_fma_f64 v[14:15], v[227:228], s[12:13], -v[14:15]
	v_fma_f64 v[16:17], v[10:11], s[0:1], -v[16:17]
	s_delay_alu instid0(VALU_DEP_2) | instskip(SKIP_2) | instid1(VALU_DEP_2)
	v_add_f64 v[42:43], v[14:15], v[6:7]
	v_fma_f64 v[6:7], v[26:27], s[10:11], v[178:179]
	v_fma_f64 v[14:15], v[2:3], s[0:1], v[194:195]
	v_add_f64 v[6:7], v[164:165], v[6:7]
	s_delay_alu instid0(VALU_DEP_1) | instskip(SKIP_1) | instid1(VALU_DEP_1)
	v_add_f64 v[6:7], v[14:15], v[6:7]
	v_fma_f64 v[14:15], v[204:205], s[10:11], -v[196:197]
	v_add_f64 v[14:15], v[166:167], v[14:15]
	s_delay_alu instid0(VALU_DEP_1) | instskip(SKIP_1) | instid1(VALU_DEP_1)
	v_add_f64 v[14:15], v[16:17], v[14:15]
	v_fma_f64 v[16:17], v[4:5], s[20:21], v[118:119]
	v_add_f64 v[6:7], v[16:17], v[6:7]
	v_mul_f64 v[16:17], v[12:13], s[26:27]
	scratch_store_b64 off, v[16:17], off offset:876 ; 8-byte Folded Spill
	v_fma_f64 v[16:17], v[247:248], s[20:21], -v[16:17]
	s_delay_alu instid0(VALU_DEP_1) | instskip(SKIP_3) | instid1(VALU_DEP_1)
	v_add_f64 v[14:15], v[16:17], v[14:15]
	v_mul_f64 v[16:17], v[0:1], s[50:51]
	scratch_store_b64 off, v[16:17], off offset:852 ; 8-byte Folded Spill
	v_fma_f64 v[16:17], v[176:177], s[12:13], v[16:17]
	v_add_f64 v[6:7], v[16:17], v[6:7]
	v_mul_f64 v[16:17], v[18:19], s[50:51]
	scratch_store_b64 off, v[16:17], off offset:900 ; 8-byte Folded Spill
	v_fma_f64 v[16:17], v[253:254], s[12:13], -v[16:17]
	s_delay_alu instid0(VALU_DEP_1) | instskip(SKIP_3) | instid1(VALU_DEP_1)
	v_add_f64 v[14:15], v[16:17], v[14:15]
	v_mul_f64 v[16:17], v[168:169], s[48:49]
	scratch_store_b64 off, v[16:17], off offset:884 ; 8-byte Folded Spill
	;; [unrolled: 9-line block ×4, first 2 shown]
	v_fma_f64 v[16:17], v[243:244], s[14:15], v[16:17]
	v_add_f64 v[6:7], v[16:17], v[6:7]
	v_mul_f64 v[16:17], v[170:171], s[44:45]
	scratch_store_b64 off, v[16:17], off offset:700 ; 8-byte Folded Spill
	v_fma_f64 v[16:17], v[251:252], s[14:15], -v[16:17]
	s_delay_alu instid0(VALU_DEP_1)
	v_add_f64 v[14:15], v[16:17], v[14:15]
	v_mul_f64 v[16:17], v[225:226], s[46:47]
	s_clause 0x1
	scratch_store_b128 off, v[40:43], off
	scratch_store_b64 off, v[16:17], off offset:604
	v_fma_f64 v[16:17], v[221:222], s[8:9], v[16:17]
	s_delay_alu instid0(VALU_DEP_1)
	v_add_f64 v[152:153], v[16:17], v[6:7]
	v_mul_f64 v[6:7], v[172:173], s[46:47]
	v_mul_f64 v[16:17], v[180:181], s[26:27]
	s_clause 0x1
	scratch_store_b64 off, v[6:7], off offset:620
	scratch_store_b64 off, v[16:17], off offset:980
	v_fma_f64 v[6:7], v[227:228], s[8:9], -v[6:7]
	v_fma_f64 v[16:17], v[10:11], s[20:21], -v[16:17]
	s_delay_alu instid0(VALU_DEP_2) | instskip(SKIP_2) | instid1(VALU_DEP_2)
	v_add_f64 v[154:155], v[6:7], v[14:15]
	v_fma_f64 v[6:7], v[26:27], s[14:15], v[235:236]
	v_mul_f64 v[14:15], v[182:183], s[26:27]
	v_add_f64 v[6:7], v[164:165], v[6:7]
	scratch_store_b64 off, v[14:15], off offset:964 ; 8-byte Folded Spill
	v_fma_f64 v[14:15], v[2:3], s[20:21], v[14:15]
	s_delay_alu instid0(VALU_DEP_1) | instskip(SKIP_1) | instid1(VALU_DEP_1)
	v_add_f64 v[6:7], v[14:15], v[6:7]
	v_fma_f64 v[14:15], v[204:205], s[14:15], -v[210:211]
	v_add_f64 v[14:15], v[166:167], v[14:15]
	s_delay_alu instid0(VALU_DEP_1) | instskip(SKIP_3) | instid1(VALU_DEP_1)
	v_add_f64 v[14:15], v[16:17], v[14:15]
	v_mul_f64 v[16:17], v[8:9], s[54:55]
	scratch_store_b64 off, v[16:17], off offset:972 ; 8-byte Folded Spill
	v_fma_f64 v[16:17], v[4:5], s[12:13], v[16:17]
	v_add_f64 v[6:7], v[16:17], v[6:7]
	v_mul_f64 v[16:17], v[12:13], s[54:55]
	scratch_store_b64 off, v[16:17], off offset:996 ; 8-byte Folded Spill
	v_fma_f64 v[16:17], v[247:248], s[12:13], -v[16:17]
	s_delay_alu instid0(VALU_DEP_1) | instskip(SKIP_3) | instid1(VALU_DEP_1)
	v_add_f64 v[14:15], v[16:17], v[14:15]
	v_mul_f64 v[16:17], v[0:1], s[30:31]
	scratch_store_b64 off, v[16:17], off offset:988 ; 8-byte Folded Spill
	v_fma_f64 v[16:17], v[176:177], s[18:19], v[16:17]
	v_add_f64 v[6:7], v[16:17], v[6:7]
	v_mul_f64 v[16:17], v[18:19], s[30:31]
	scratch_store_b64 off, v[16:17], off offset:1012 ; 8-byte Folded Spill
	v_fma_f64 v[16:17], v[253:254], s[18:19], -v[16:17]
	;; [unrolled: 9-line block ×5, first 2 shown]
	s_delay_alu instid0(VALU_DEP_1) | instskip(SKIP_3) | instid1(VALU_DEP_1)
	v_add_f64 v[14:15], v[16:17], v[14:15]
	v_mul_f64 v[16:17], v[225:226], s[34:35]
	scratch_store_b64 off, v[16:17], off offset:676 ; 8-byte Folded Spill
	v_fma_f64 v[16:17], v[221:222], s[24:25], v[16:17]
	v_add_f64 v[124:125], v[16:17], v[6:7]
	v_mul_f64 v[6:7], v[172:173], s[34:35]
	v_mul_f64 v[16:17], v[180:181], s[50:51]
	s_clause 0x1
	scratch_store_b64 off, v[6:7], off offset:716
	scratch_store_b64 off, v[16:17], off offset:1076
	v_fma_f64 v[6:7], v[227:228], s[24:25], -v[6:7]
	v_fma_f64 v[16:17], v[10:11], s[12:13], -v[16:17]
	s_delay_alu instid0(VALU_DEP_2) | instskip(SKIP_2) | instid1(VALU_DEP_2)
	v_add_f64 v[126:127], v[6:7], v[14:15]
	v_fma_f64 v[6:7], v[26:27], s[0:1], v[44:45]
	v_mul_f64 v[14:15], v[182:183], s[50:51]
	v_add_f64 v[6:7], v[164:165], v[6:7]
	scratch_store_b64 off, v[14:15], off offset:1060 ; 8-byte Folded Spill
	v_fma_f64 v[14:15], v[2:3], s[12:13], v[14:15]
	s_delay_alu instid0(VALU_DEP_1) | instskip(SKIP_1) | instid1(VALU_DEP_1)
	v_add_f64 v[6:7], v[14:15], v[6:7]
	v_fma_f64 v[14:15], v[204:205], s[0:1], -v[48:49]
	v_add_f64 v[14:15], v[166:167], v[14:15]
	s_delay_alu instid0(VALU_DEP_1) | instskip(SKIP_3) | instid1(VALU_DEP_1)
	v_add_f64 v[14:15], v[16:17], v[14:15]
	v_mul_f64 v[16:17], v[8:9], s[30:31]
	scratch_store_b64 off, v[16:17], off offset:1068 ; 8-byte Folded Spill
	v_fma_f64 v[16:17], v[4:5], s[18:19], v[16:17]
	v_add_f64 v[6:7], v[16:17], v[6:7]
	v_mul_f64 v[16:17], v[12:13], s[30:31]
	scratch_store_b64 off, v[16:17], off offset:1092 ; 8-byte Folded Spill
	v_fma_f64 v[16:17], v[247:248], s[18:19], -v[16:17]
	s_delay_alu instid0(VALU_DEP_1) | instskip(SKIP_3) | instid1(VALU_DEP_1)
	v_add_f64 v[14:15], v[16:17], v[14:15]
	v_mul_f64 v[16:17], v[0:1], s[46:47]
	scratch_store_b64 off, v[16:17], off offset:1084 ; 8-byte Folded Spill
	v_fma_f64 v[16:17], v[176:177], s[8:9], v[16:17]
	v_add_f64 v[6:7], v[16:17], v[6:7]
	v_mul_f64 v[16:17], v[18:19], s[46:47]
	scratch_store_b64 off, v[16:17], off offset:1108 ; 8-byte Folded Spill
	v_fma_f64 v[16:17], v[253:254], s[8:9], -v[16:17]
	s_delay_alu instid0(VALU_DEP_1) | instskip(SKIP_3) | instid1(VALU_DEP_1)
	v_add_f64 v[14:15], v[16:17], v[14:15]
	v_mul_f64 v[16:17], v[168:169], s[40:41]
	scratch_store_b64 off, v[16:17], off offset:1100 ; 8-byte Folded Spill
	v_fma_f64 v[16:17], v[174:175], s[14:15], v[16:17]
	v_add_f64 v[6:7], v[16:17], v[6:7]
	v_fma_f64 v[16:17], v[28:29], s[14:15], -v[36:37]
	s_delay_alu instid0(VALU_DEP_1) | instskip(SKIP_3) | instid1(VALU_DEP_1)
	v_add_f64 v[14:15], v[16:17], v[14:15]
	v_mul_f64 v[16:17], v[223:224], s[34:35]
	scratch_store_b64 off, v[16:17], off offset:1116 ; 8-byte Folded Spill
	v_fma_f64 v[16:17], v[22:23], s[24:25], v[16:17]
	v_add_f64 v[6:7], v[16:17], v[6:7]
	;; [unrolled: 7-line block ×3, first 2 shown]
	v_mul_f64 v[16:17], v[170:171], s[52:53]
	scratch_store_b64 off, v[16:17], off offset:788 ; 8-byte Folded Spill
	v_fma_f64 v[16:17], v[251:252], s[20:21], -v[16:17]
	s_delay_alu instid0(VALU_DEP_1) | instskip(SKIP_3) | instid1(VALU_DEP_1)
	v_add_f64 v[14:15], v[16:17], v[14:15]
	v_mul_f64 v[16:17], v[225:226], s[42:43]
	scratch_store_b64 off, v[16:17], off offset:748 ; 8-byte Folded Spill
	v_fma_f64 v[16:17], v[221:222], s[10:11], v[16:17]
	v_add_f64 v[128:129], v[16:17], v[6:7]
	v_mul_f64 v[6:7], v[172:173], s[42:43]
	v_fma_f64 v[16:17], v[10:11], s[24:25], -v[62:63]
	scratch_store_b64 off, v[6:7], off offset:764 ; 8-byte Folded Spill
	v_fma_f64 v[6:7], v[227:228], s[10:11], -v[6:7]
	s_delay_alu instid0(VALU_DEP_1) | instskip(SKIP_2) | instid1(VALU_DEP_2)
	v_add_f64 v[130:131], v[6:7], v[14:15]
	v_fma_f64 v[6:7], v[26:27], s[18:19], v[50:51]
	v_fma_f64 v[14:15], v[2:3], s[24:25], v[108:109]
	v_add_f64 v[6:7], v[164:165], v[6:7]
	s_delay_alu instid0(VALU_DEP_1) | instskip(SKIP_1) | instid1(VALU_DEP_1)
	v_add_f64 v[6:7], v[14:15], v[6:7]
	v_fma_f64 v[14:15], v[204:205], s[18:19], -v[20:21]
	v_add_f64 v[14:15], v[166:167], v[14:15]
	s_delay_alu instid0(VALU_DEP_1) | instskip(SKIP_1) | instid1(VALU_DEP_1)
	v_add_f64 v[14:15], v[16:17], v[14:15]
	v_fma_f64 v[16:17], v[4:5], s[10:11], v[60:61]
	v_add_f64 v[6:7], v[16:17], v[6:7]
	v_fma_f64 v[16:17], v[247:248], s[10:11], -v[70:71]
	s_delay_alu instid0(VALU_DEP_1) | instskip(SKIP_1) | instid1(VALU_DEP_1)
	v_add_f64 v[14:15], v[16:17], v[14:15]
	v_fma_f64 v[16:17], v[176:177], s[14:15], v[110:111]
	v_add_f64 v[6:7], v[16:17], v[6:7]
	v_fma_f64 v[16:17], v[253:254], s[14:15], -v[66:67]
	;; [unrolled: 5-line block ×4, first 2 shown]
	s_delay_alu instid0(VALU_DEP_1) | instskip(SKIP_1) | instid1(VALU_DEP_1)
	v_add_f64 v[14:15], v[16:17], v[14:15]
	v_fma_f64 v[16:17], v[243:244], s[8:9], v[54:55]
	v_add_f64 v[6:7], v[16:17], v[6:7]
	v_mul_f64 v[16:17], v[170:171], s[36:37]
	scratch_store_b64 off, v[16:17], off offset:860 ; 8-byte Folded Spill
	v_fma_f64 v[16:17], v[251:252], s[8:9], -v[16:17]
	s_delay_alu instid0(VALU_DEP_1) | instskip(SKIP_3) | instid1(VALU_DEP_1)
	v_add_f64 v[14:15], v[16:17], v[14:15]
	v_mul_f64 v[16:17], v[225:226], s[26:27]
	scratch_store_b64 off, v[16:17], off offset:780 ; 8-byte Folded Spill
	v_fma_f64 v[16:17], v[221:222], s[20:21], v[16:17]
	v_add_f64 v[148:149], v[16:17], v[6:7]
	v_mul_f64 v[6:7], v[172:173], s[26:27]
	v_fma_f64 v[16:17], v[10:11], s[18:19], -v[88:89]
	scratch_store_b64 off, v[6:7], off offset:796 ; 8-byte Folded Spill
	v_fma_f64 v[6:7], v[227:228], s[20:21], -v[6:7]
	s_delay_alu instid0(VALU_DEP_1) | instskip(SKIP_2) | instid1(VALU_DEP_2)
	v_add_f64 v[150:151], v[6:7], v[14:15]
	v_fma_f64 v[6:7], v[26:27], s[20:21], v[184:185]
	v_fma_f64 v[14:15], v[2:3], s[18:19], v[58:59]
	v_add_f64 v[6:7], v[164:165], v[6:7]
	s_delay_alu instid0(VALU_DEP_1) | instskip(SKIP_1) | instid1(VALU_DEP_1)
	v_add_f64 v[6:7], v[14:15], v[6:7]
	v_fma_f64 v[14:15], v[204:205], s[20:21], -v[186:187]
	v_add_f64 v[14:15], v[166:167], v[14:15]
	s_delay_alu instid0(VALU_DEP_1) | instskip(SKIP_1) | instid1(VALU_DEP_1)
	v_add_f64 v[14:15], v[16:17], v[14:15]
	v_fma_f64 v[16:17], v[4:5], s[8:9], v[233:234]
	v_add_f64 v[6:7], v[16:17], v[6:7]
	v_fma_f64 v[16:17], v[247:248], s[8:9], -v[206:207]
	s_delay_alu instid0(VALU_DEP_1) | instskip(SKIP_1) | instid1(VALU_DEP_1)
	v_add_f64 v[14:15], v[16:17], v[14:15]
	v_fma_f64 v[16:17], v[176:177], s[24:25], v[90:91]
	v_add_f64 v[6:7], v[16:17], v[6:7]
	v_fma_f64 v[16:17], v[253:254], s[24:25], -v[239:240]
	;; [unrolled: 5-line block ×4, first 2 shown]
	s_delay_alu instid0(VALU_DEP_1) | instskip(SKIP_3) | instid1(VALU_DEP_1)
	v_add_f64 v[14:15], v[16:17], v[14:15]
	v_mul_f64 v[16:17], v[249:250], s[50:51]
	scratch_store_b64 off, v[16:17], off offset:932 ; 8-byte Folded Spill
	v_fma_f64 v[16:17], v[243:244], s[12:13], v[16:17]
	v_add_f64 v[6:7], v[16:17], v[6:7]
	v_mul_f64 v[16:17], v[170:171], s[50:51]
	scratch_store_b64 off, v[16:17], off offset:948 ; 8-byte Folded Spill
	v_fma_f64 v[16:17], v[251:252], s[12:13], -v[16:17]
	s_delay_alu instid0(VALU_DEP_1) | instskip(SKIP_3) | instid1(VALU_DEP_1)
	v_add_f64 v[14:15], v[16:17], v[14:15]
	v_mul_f64 v[16:17], v[225:226], s[44:45]
	scratch_store_b64 off, v[16:17], off offset:844 ; 8-byte Folded Spill
	v_fma_f64 v[16:17], v[221:222], s[14:15], v[16:17]
	v_add_f64 v[156:157], v[16:17], v[6:7]
	v_mul_f64 v[6:7], v[172:173], s[44:45]
	v_fma_f64 v[16:17], v[10:11], s[14:15], -v[245:246]
	scratch_store_b64 off, v[6:7], off offset:868 ; 8-byte Folded Spill
	v_fma_f64 v[6:7], v[227:228], s[14:15], -v[6:7]
	s_delay_alu instid0(VALU_DEP_1) | instskip(SKIP_2) | instid1(VALU_DEP_2)
	v_add_f64 v[158:159], v[6:7], v[14:15]
	v_fma_f64 v[6:7], v[26:27], s[24:25], v[30:31]
	v_fma_f64 v[14:15], v[2:3], s[14:15], v[214:215]
	v_add_f64 v[6:7], v[164:165], v[6:7]
	s_delay_alu instid0(VALU_DEP_1) | instskip(SKIP_1) | instid1(VALU_DEP_1)
	v_add_f64 v[14:15], v[14:15], v[6:7]
	v_fma_f64 v[6:7], v[204:205], s[24:25], -v[68:69]
	v_add_f64 v[6:7], v[166:167], v[6:7]
	s_delay_alu instid0(VALU_DEP_1) | instskip(SKIP_1) | instid1(VALU_DEP_1)
	v_add_f64 v[16:17], v[16:17], v[6:7]
	v_mul_f64 v[6:7], v[8:9], s[16:17]
	v_fma_f64 v[40:41], v[4:5], s[0:1], v[6:7]
	s_delay_alu instid0(VALU_DEP_1) | instskip(SKIP_1) | instid1(VALU_DEP_1)
	v_add_f64 v[40:41], v[40:41], v[14:15]
	v_mul_f64 v[14:15], v[12:13], s[16:17]
	v_fma_f64 v[42:43], v[247:248], s[0:1], -v[14:15]
	s_delay_alu instid0(VALU_DEP_1) | instskip(SKIP_1) | instid1(VALU_DEP_1)
	v_add_f64 v[42:43], v[42:43], v[16:17]
	v_fma_f64 v[16:17], v[176:177], s[20:21], v[216:217]
	v_add_f64 v[40:41], v[16:17], v[40:41]
	v_mul_f64 v[16:17], v[18:19], s[52:53]
	s_delay_alu instid0(VALU_DEP_1) | instskip(NEXT) | instid1(VALU_DEP_1)
	v_fma_f64 v[46:47], v[253:254], s[20:21], -v[16:17]
	v_add_f64 v[46:47], v[46:47], v[42:43]
	v_fma_f64 v[42:43], v[174:175], s[8:9], v[218:219]
	s_delay_alu instid0(VALU_DEP_1) | instskip(SKIP_1) | instid1(VALU_DEP_1)
	v_add_f64 v[160:161], v[42:43], v[40:41]
	v_mul_f64 v[42:43], v[24:25], s[36:37]
	v_fma_f64 v[40:41], v[28:29], s[8:9], -v[42:43]
	s_delay_alu instid0(VALU_DEP_1) | instskip(SKIP_1) | instid1(VALU_DEP_1)
	v_add_f64 v[162:163], v[40:41], v[46:47]
	v_mul_f64 v[40:41], v[223:224], s[50:51]
	v_fma_f64 v[46:47], v[22:23], s[12:13], v[40:41]
	s_delay_alu instid0(VALU_DEP_1) | instskip(SKIP_1) | instid1(VALU_DEP_1)
	v_add_f64 v[160:161], v[46:47], v[160:161]
	v_mul_f64 v[46:47], v[38:39], s[50:51]
	v_fma_f64 v[188:189], v[32:33], s[12:13], -v[46:47]
	s_delay_alu instid0(VALU_DEP_1) | instskip(SKIP_3) | instid1(VALU_DEP_1)
	v_add_f64 v[162:163], v[188:189], v[162:163]
	v_mul_f64 v[188:189], v[249:250], s[42:43]
	scratch_store_b64 off, v[188:189], off offset:1036 ; 8-byte Folded Spill
	v_fma_f64 v[188:189], v[243:244], s[10:11], v[188:189]
	v_add_f64 v[160:161], v[188:189], v[160:161]
	v_mul_f64 v[188:189], v[170:171], s[42:43]
	scratch_store_b64 off, v[188:189], off offset:1044 ; 8-byte Folded Spill
	v_fma_f64 v[188:189], v[251:252], s[10:11], -v[188:189]
	s_delay_alu instid0(VALU_DEP_1) | instskip(SKIP_3) | instid1(VALU_DEP_1)
	v_add_f64 v[162:163], v[188:189], v[162:163]
	v_mul_f64 v[188:189], v[225:226], s[22:23]
	scratch_store_b64 off, v[188:189], off offset:940 ; 8-byte Folded Spill
	v_fma_f64 v[188:189], v[221:222], s[18:19], v[188:189]
	v_add_f64 v[160:161], v[188:189], v[160:161]
	v_mul_f64 v[188:189], v[172:173], s[22:23]
	scratch_store_b64 off, v[188:189], off offset:956 ; 8-byte Folded Spill
	v_fma_f64 v[188:189], v[227:228], s[18:19], -v[188:189]
	s_delay_alu instid0(VALU_DEP_1)
	v_add_f64 v[162:163], v[188:189], v[162:163]
	s_and_saveexec_b32 s33, vcc_lo
	s_cbranch_execz .LBB0_5
; %bb.4:
	v_mul_f64 v[188:189], v[204:205], s[12:13]
	v_mul_f64 v[34:35], v[34:35], s[50:51]
	;; [unrolled: 1-line block ×8, first 2 shown]
	v_fma_f64 v[52:53], v[231:232], s[54:55], v[188:189]
	v_fma_f64 v[188:189], v[231:232], s[50:51], v[188:189]
	v_mul_f64 v[231:232], v[204:205], s[24:25]
	s_delay_alu instid0(VALU_DEP_2) | instskip(NEXT) | instid1(VALU_DEP_2)
	v_add_f64 v[188:189], v[166:167], v[188:189]
	v_add_f64 v[68:69], v[68:69], v[231:232]
	v_mul_f64 v[231:232], v[26:27], s[24:25]
	s_delay_alu instid0(VALU_DEP_1) | instskip(SKIP_1) | instid1(VALU_DEP_2)
	v_add_f64 v[30:31], v[231:232], -v[30:31]
	v_mul_f64 v[231:232], v[204:205], s[20:21]
	v_add_f64 v[30:31], v[164:165], v[30:31]
	s_delay_alu instid0(VALU_DEP_2) | instskip(SKIP_1) | instid1(VALU_DEP_1)
	v_add_f64 v[186:187], v[186:187], v[231:232]
	v_mul_f64 v[231:232], v[26:27], s[20:21]
	v_add_f64 v[184:185], v[231:232], -v[184:185]
	v_mul_f64 v[231:232], v[204:205], s[18:19]
	s_delay_alu instid0(VALU_DEP_1) | instskip(SKIP_1) | instid1(VALU_DEP_2)
	v_add_f64 v[20:21], v[20:21], v[231:232]
	v_mul_f64 v[231:232], v[26:27], s[18:19]
	v_add_f64 v[20:21], v[166:167], v[20:21]
	s_delay_alu instid0(VALU_DEP_2)
	v_add_f64 v[50:51], v[231:232], -v[50:51]
	v_mul_f64 v[231:232], v[204:205], s[0:1]
	s_clause 0x1
	scratch_store_b64 off, v[30:31], off offset:1308
	scratch_store_b64 off, v[54:55], off offset:1468
	v_dual_mov_b32 v54, v194 :: v_dual_mov_b32 v55, v195
	scratch_load_b64 v[194:195], off, off offset:804 ; 8-byte Folded Reload
	s_clause 0x1
	scratch_store_b64 off, v[52:53], off offset:1132
	scratch_store_b128 off, v[128:131], off offset:804
	v_dual_mov_b32 v128, v190 :: v_dual_mov_b32 v129, v191
	v_dual_mov_b32 v130, v192 :: v_dual_mov_b32 v131, v193
	v_add_f64 v[30:31], v[166:167], v[186:187]
	v_mul_f64 v[186:187], v[243:244], s[0:1]
	s_clause 0x2
	scratch_load_b64 v[52:53], off, off offset:532
	scratch_load_b64 v[192:193], off, off offset:1132
	;; [unrolled: 1-line block ×3, first 2 shown]
	s_clause 0x1
	scratch_store_b128 off, v[148:151], off offset:564
	scratch_store_b128 off, v[124:127], off offset:532
	v_dual_mov_b32 v151, v123 :: v_dual_mov_b32 v150, v122
	v_dual_mov_b32 v149, v121 :: v_dual_mov_b32 v148, v120
	v_fma_f64 v[120:121], v[243:244], s[18:19], v[249:250]
	v_fma_f64 v[122:123], v[243:244], s[18:19], -v[249:250]
	v_mul_f64 v[249:250], v[227:228], s[0:1]
	scratch_store_b64 off, v[20:21], off offset:1332 ; 8-byte Folded Spill
	v_add_f64 v[20:21], v[164:165], v[50:51]
	v_add_f64 v[48:49], v[48:49], v[231:232]
	v_mul_f64 v[231:232], v[26:27], s[0:1]
	v_mul_f64 v[50:51], v[22:23], s[18:19]
	scratch_store_b64 off, v[30:31], off offset:1316 ; 8-byte Folded Spill
	v_add_f64 v[30:31], v[164:165], v[184:185]
	v_mul_f64 v[184:185], v[2:3], s[0:1]
	v_fma_f64 v[124:125], v[172:173], s[16:17], v[249:250]
	v_fma_f64 v[172:173], v[172:173], s[28:29], v[249:250]
	v_mul_f64 v[249:250], v[227:228], s[18:19]
	scratch_store_b64 off, v[20:21], off offset:1340 ; 8-byte Folded Spill
	v_add_f64 v[20:21], v[166:167], v[48:49]
	v_add_f64 v[44:45], v[231:232], -v[44:45]
	v_mul_f64 v[231:232], v[204:205], s[14:15]
	v_mul_f64 v[48:49], v[10:11], s[0:1]
	v_add_f64 v[184:185], v[184:185], -v[54:55]
	v_mul_f64 v[54:55], v[243:244], s[20:21]
	scratch_store_b64 off, v[20:21], off offset:1348 ; 8-byte Folded Spill
	v_add_f64 v[20:21], v[164:165], v[44:45]
	v_add_f64 v[210:211], v[210:211], v[231:232]
	v_mul_f64 v[231:232], v[26:27], s[14:15]
	v_mul_f64 v[44:45], v[247:248], s[20:21]
	scratch_store_b64 off, v[20:21], off offset:1356 ; 8-byte Folded Spill
	v_add_f64 v[20:21], v[166:167], v[210:211]
	v_add_f64 v[231:232], v[231:232], -v[235:236]
	v_mul_f64 v[235:236], v[204:205], s[10:11]
	v_mul_f64 v[204:205], v[204:205], s[8:9]
	;; [unrolled: 1-line block ×3, first 2 shown]
	scratch_store_b64 off, v[20:21], off offset:1364 ; 8-byte Folded Spill
	v_add_f64 v[20:21], v[164:165], v[231:232]
	v_add_f64 v[196:197], v[196:197], v[235:236]
	v_mul_f64 v[235:236], v[26:27], s[10:11]
	v_mul_f64 v[231:232], v[251:252], s[8:9]
	scratch_store_b64 off, v[20:21], off offset:1372 ; 8-byte Folded Spill
	v_add_f64 v[20:21], v[166:167], v[196:197]
	v_add_f64 v[178:179], v[235:236], -v[178:179]
	scratch_load_b64 v[235:236], off, off offset:892 ; 8-byte Folded Reload
	v_mul_f64 v[196:197], v[251:252], s[12:13]
	scratch_store_b64 off, v[20:21], off offset:1380 ; 8-byte Folded Spill
	v_add_f64 v[20:21], v[164:165], v[178:179]
	v_mul_f64 v[178:179], v[4:5], s[20:21]
	scratch_store_b64 off, v[20:21], off offset:1388 ; 8-byte Folded Spill
	v_add_f64 v[178:179], v[178:179], -v[118:119]
	s_waitcnt vmcnt(3)
	v_add_f64 v[52:53], v[164:165], v[52:53]
	s_waitcnt vmcnt(1)
	v_add_f64 v[190:191], v[166:167], v[190:191]
	;; [unrolled: 2-line block ×3, first 2 shown]
	v_fma_f64 v[235:236], v[26:27], s[12:13], v[34:35]
	v_fma_f64 v[34:35], v[26:27], s[12:13], -v[34:35]
	v_mul_f64 v[26:27], v[26:27], s[8:9]
	s_delay_alu instid0(VALU_DEP_4) | instskip(SKIP_1) | instid1(VALU_DEP_4)
	v_add_f64 v[20:21], v[166:167], v[204:205]
	v_mul_f64 v[204:205], v[22:23], s[24:25]
	v_add_f64 v[34:35], v[164:165], v[34:35]
	s_delay_alu instid0(VALU_DEP_4)
	v_add_f64 v[26:27], v[26:27], -v[194:195]
	v_add_f64 v[194:195], v[166:167], v[192:193]
	v_add_f64 v[192:193], v[164:165], v[235:236]
	v_mul_f64 v[235:236], v[243:244], s[8:9]
	scratch_store_b64 off, v[20:21], off offset:1396 ; 8-byte Folded Spill
	v_add_f64 v[20:21], v[164:165], v[26:27]
	v_mul_f64 v[164:165], v[32:33], s[14:15]
	v_mul_f64 v[26:27], v[32:33], s[18:19]
	scratch_store_b64 off, v[20:21], off offset:1404 ; 8-byte Folded Spill
	v_fma_f64 v[20:21], v[38:39], s[40:41], v[164:165]
	scratch_store_b64 off, v[20:21], off offset:1132 ; 8-byte Folded Spill
	v_fma_f64 v[20:21], v[38:39], s[44:45], v[164:165]
	v_mul_f64 v[164:165], v[28:29], s[20:21]
	scratch_store_b64 off, v[192:193], off offset:1276 ; 8-byte Folded Spill
	v_mul_f64 v[38:39], v[28:29], s[10:11]
	scratch_load_b64 v[192:193], off, off offset:716 ; 8-byte Folded Reload
	scratch_store_b64 off, v[20:21], off offset:892 ; 8-byte Folded Spill
	v_fma_f64 v[20:21], v[24:25], s[52:53], v[164:165]
	scratch_store_b64 off, v[20:21], off offset:1164 ; 8-byte Folded Spill
	v_fma_f64 v[20:21], v[24:25], s[26:27], v[164:165]
	v_mul_f64 v[164:165], v[253:254], s[10:11]
	v_mul_f64 v[24:25], v[247:248], s[12:13]
	scratch_store_b64 off, v[20:21], off offset:1156 ; 8-byte Folded Spill
	v_fma_f64 v[20:21], v[18:19], s[38:39], v[164:165]
	v_fma_f64 v[18:19], v[18:19], s[42:43], v[164:165]
	v_mul_f64 v[164:165], v[247:248], s[24:25]
	scratch_store_b64 off, v[18:19], off offset:1204 ; 8-byte Folded Spill
	v_fma_f64 v[18:19], v[12:13], s[48:49], v[164:165]
	v_fma_f64 v[12:13], v[12:13], s[34:35], v[164:165]
	v_mul_f64 v[164:165], v[10:11], s[8:9]
	s_clause 0x1
	scratch_store_b64 off, v[18:19], off offset:1428
	scratch_store_b64 off, v[12:13], off offset:1420
	v_fma_f64 v[18:19], v[180:181], s[36:37], v[164:165]
	v_fma_f64 v[12:13], v[180:181], s[46:47], v[164:165]
	v_mul_f64 v[180:181], v[32:33], s[12:13]
	scratch_load_b64 v[164:165], off, off offset:764 ; 8-byte Folded Reload
	v_add_f64 v[18:19], v[18:19], v[194:195]
	scratch_store_b64 off, v[12:13], off offset:1500 ; 8-byte Folded Spill
	v_add_f64 v[12:13], v[46:47], v[180:181]
	v_mul_f64 v[180:181], v[28:29], s[8:9]
	v_mul_f64 v[46:47], v[10:11], s[12:13]
	scratch_store_b64 off, v[12:13], off offset:1148 ; 8-byte Folded Spill
	v_add_f64 v[12:13], v[42:43], v[180:181]
	v_mul_f64 v[180:181], v[253:254], s[20:21]
	v_mul_f64 v[42:43], v[2:3], s[12:13]
	;; [unrolled: 4-line block ×3, first 2 shown]
	scratch_store_b64 off, v[12:13], off offset:1244 ; 8-byte Folded Spill
	v_add_f64 v[12:13], v[14:15], v[180:181]
	v_mul_f64 v[180:181], v[10:11], s[14:15]
	scratch_store_b64 off, v[12:13], off offset:1452 ; 8-byte Folded Spill
	v_add_f64 v[180:181], v[245:246], v[180:181]
	v_mul_f64 v[245:246], v[22:23], s[12:13]
	s_delay_alu instid0(VALU_DEP_1)
	v_add_f64 v[12:13], v[245:246], -v[40:41]
	v_mul_f64 v[245:246], v[174:175], s[8:9]
	v_mul_f64 v[40:41], v[247:248], s[18:19]
	scratch_store_b64 off, v[12:13], off offset:1140 ; 8-byte Folded Spill
	v_add_f64 v[12:13], v[245:246], -v[218:219]
	v_mul_f64 v[245:246], v[176:177], s[20:21]
	v_mul_f64 v[218:219], v[32:33], s[8:9]
	scratch_store_b64 off, v[12:13], off offset:1196 ; 8-byte Folded Spill
	v_add_f64 v[12:13], v[245:246], -v[216:217]
	v_mul_f64 v[245:246], v[4:5], s[0:1]
	v_mul_f64 v[216:217], v[4:5], s[12:13]
	s_delay_alu instid0(VALU_DEP_2) | instskip(SKIP_4) | instid1(VALU_DEP_1)
	v_add_f64 v[6:7], v[245:246], -v[6:7]
	v_mul_f64 v[245:246], v[2:3], s[14:15]
	scratch_store_b64 off, v[6:7], off offset:1484 ; 8-byte Folded Spill
	v_add_f64 v[214:215], v[245:246], -v[214:215]
	v_mul_f64 v[245:246], v[32:33], s[10:11]
	v_add_f64 v[6:7], v[212:213], v[245:246]
	v_mul_f64 v[245:246], v[28:29], s[0:1]
	v_mul_f64 v[212:213], v[176:177], s[8:9]
	scratch_store_b64 off, v[6:7], off offset:1172 ; 8-byte Folded Spill
	v_add_f64 v[6:7], v[241:242], v[245:246]
	v_mul_f64 v[245:246], v[253:254], s[24:25]
	v_mul_f64 v[241:242], v[22:23], s[8:9]
	scratch_store_b64 off, v[6:7], off offset:1236 ; 8-byte Folded Spill
	;; [unrolled: 4-line block ×3, first 2 shown]
	v_add_f64 v[6:7], v[206:207], v[245:246]
	v_mul_f64 v[245:246], v[10:11], s[18:19]
	scratch_store_b64 off, v[6:7], off offset:1508 ; 8-byte Folded Spill
	v_add_f64 v[88:89], v[88:89], v[245:246]
	v_mul_f64 v[245:246], v[22:23], s[10:11]
	s_delay_alu instid0(VALU_DEP_1)
	v_add_f64 v[6:7], v[245:246], -v[208:209]
	v_mul_f64 v[245:246], v[174:175], s[0:1]
	v_mul_f64 v[208:209], v[4:5], s[18:19]
	scratch_store_b64 off, v[6:7], off offset:1180 ; 8-byte Folded Spill
	v_add_f64 v[6:7], v[245:246], -v[237:238]
	v_mul_f64 v[245:246], v[176:177], s[24:25]
	v_mul_f64 v[237:238], v[176:177], s[18:19]
	scratch_store_b64 off, v[6:7], off offset:1252 ; 8-byte Folded Spill
	;; [unrolled: 4-line block ×3, first 2 shown]
	v_add_f64 v[6:7], v[245:246], -v[233:234]
	v_mul_f64 v[245:246], v[2:3], s[18:19]
	scratch_store_b64 off, v[6:7], off offset:1524 ; 8-byte Folded Spill
	v_add_f64 v[58:59], v[245:246], -v[58:59]
	v_mul_f64 v[245:246], v[32:33], s[0:1]
	s_delay_alu instid0(VALU_DEP_1)
	v_add_f64 v[6:7], v[56:57], v[245:246]
	v_mul_f64 v[245:246], v[28:29], s[12:13]
	v_mul_f64 v[56:57], v[253:254], s[18:19]
	scratch_store_b64 off, v[6:7], off offset:1212 ; 8-byte Folded Spill
	v_add_f64 v[6:7], v[202:203], v[245:246]
	v_mul_f64 v[245:246], v[253:254], s[14:15]
	v_mul_f64 v[202:203], v[251:252], s[20:21]
	scratch_store_b64 off, v[6:7], off offset:1412 ; 8-byte Folded Spill
	v_add_f64 v[6:7], v[66:67], v[245:246]
	v_mul_f64 v[245:246], v[247:248], s[10:11]
	v_mul_f64 v[247:248], v[247:248], s[14:15]
	scratch_load_b64 v[66:67], off, off offset:796 ; 8-byte Folded Reload
	scratch_store_b64 off, v[6:7], off offset:1492 ; 8-byte Folded Spill
	v_add_f64 v[233:234], v[70:71], v[245:246]
	v_mul_f64 v[245:246], v[10:11], s[24:25]
	scratch_load_b64 v[70:71], off, off offset:1276 ; 8-byte Folded Reload
	v_add_f64 v[62:63], v[62:63], v[245:246]
	v_mul_f64 v[245:246], v[22:23], s[0:1]
	s_delay_alu instid0(VALU_DEP_1)
	v_add_f64 v[6:7], v[245:246], -v[200:201]
	v_mul_f64 v[245:246], v[174:175], s[12:13]
	v_mul_f64 v[200:201], v[10:11], s[20:21]
	;; [unrolled: 1-line block ×3, first 2 shown]
	scratch_store_b64 off, v[6:7], off offset:1228 ; 8-byte Folded Spill
	v_add_f64 v[6:7], v[245:246], -v[64:65]
	v_mul_f64 v[245:246], v[176:177], s[14:15]
	v_mul_f64 v[64:65], v[243:244], s[14:15]
	scratch_store_b64 off, v[6:7], off offset:1444 ; 8-byte Folded Spill
	v_add_f64 v[6:7], v[245:246], -v[110:111]
	v_mul_f64 v[245:246], v[4:5], s[10:11]
	scratch_store_b64 off, v[6:7], off offset:1516 ; 8-byte Folded Spill
	v_add_f64 v[126:127], v[245:246], -v[60:61]
	v_mul_f64 v[245:246], v[2:3], s[24:25]
	s_delay_alu instid0(VALU_DEP_1)
	v_add_f64 v[14:15], v[245:246], -v[108:109]
	v_mul_f64 v[245:246], v[32:33], s[24:25]
	v_mul_f64 v[32:33], v[32:33], s[20:21]
	v_fma_f64 v[108:109], v[4:5], s[24:25], v[8:9]
	v_fma_f64 v[8:9], v[4:5], s[24:25], -v[8:9]
	v_mul_f64 v[4:5], v[4:5], s[14:15]
	v_add_f64 v[6:7], v[229:230], v[245:246]
	v_mul_f64 v[245:246], v[28:29], s[14:15]
	v_mul_f64 v[229:230], v[2:3], s[20:21]
	scratch_store_b64 off, v[6:7], off offset:1268 ; 8-byte Folded Spill
	v_add_f64 v[6:7], v[36:37], v[245:246]
	v_mul_f64 v[245:246], v[253:254], s[8:9]
	v_mul_f64 v[36:37], v[221:222], s[14:15]
	scratch_store_b64 off, v[6:7], off offset:1476 ; 8-byte Folded Spill
	scratch_load_b64 v[6:7], off, off offset:1108 ; 8-byte Folded Reload
	s_waitcnt vmcnt(0)
	v_add_f64 v[6:7], v[6:7], v[245:246]
	scratch_store_b64 off, v[6:7], off offset:1108 ; 8-byte Folded Spill
	scratch_load_b64 v[6:7], off, off offset:1092 ; 8-byte Folded Reload
	s_waitcnt vmcnt(0)
	v_add_f64 v[40:41], v[6:7], v[40:41]
	scratch_load_b64 v[6:7], off, off offset:1076 ; 8-byte Folded Reload
	s_waitcnt vmcnt(0)
	v_add_f64 v[46:47], v[6:7], v[46:47]
	scratch_load_b64 v[6:7], off, off offset:1116 ; 8-byte Folded Reload
	s_waitcnt vmcnt(0)
	v_add_f64 v[6:7], v[204:205], -v[6:7]
	scratch_store_b64 off, v[30:31], off offset:1324 ; 8-byte Folded Spill
	v_mul_f64 v[204:205], v[174:175], s[14:15]
	v_mul_f64 v[30:31], v[28:29], s[24:25]
	;; [unrolled: 1-line block ×3, first 2 shown]
	scratch_store_b64 off, v[6:7], off offset:1076 ; 8-byte Folded Spill
	scratch_load_b64 v[6:7], off, off offset:1100 ; 8-byte Folded Reload
	s_waitcnt vmcnt(0)
	v_add_f64 v[6:7], v[204:205], -v[6:7]
	v_mul_f64 v[204:205], v[221:222], s[10:11]
	scratch_store_b64 off, v[6:7], off offset:1092 ; 8-byte Folded Spill
	scratch_load_b64 v[6:7], off, off offset:1084 ; 8-byte Folded Reload
	s_waitcnt vmcnt(0)
	v_add_f64 v[212:213], v[212:213], -v[6:7]
	scratch_load_b64 v[6:7], off, off offset:1068 ; 8-byte Folded Reload
	s_waitcnt vmcnt(0)
	v_add_f64 v[60:61], v[208:209], -v[6:7]
	scratch_load_b64 v[6:7], off, off offset:1060 ; 8-byte Folded Reload
	v_dual_mov_b32 v209, v155 :: v_dual_mov_b32 v208, v154
	v_dual_mov_b32 v207, v153 :: v_dual_mov_b32 v206, v152
	s_waitcnt vmcnt(0)
	v_add_f64 v[42:43], v[42:43], -v[6:7]
	scratch_load_b64 v[6:7], off, off offset:1052 ; 8-byte Folded Reload
	s_waitcnt vmcnt(0)
	v_add_f64 v[6:7], v[6:7], v[218:219]
	scratch_store_b64 off, v[34:35], off offset:1292 ; 8-byte Folded Spill
	v_add_f64 v[34:35], v[166:167], v[68:69]
	v_mul_f64 v[68:69], v[174:175], s[24:25]
	v_mul_f64 v[166:167], v[176:177], s[12:13]
	;; [unrolled: 1-line block ×3, first 2 shown]
	scratch_store_b64 off, v[6:7], off offset:1052 ; 8-byte Folded Spill
	scratch_load_b64 v[6:7], off, off offset:1028 ; 8-byte Folded Reload
	s_waitcnt vmcnt(0)
	v_add_f64 v[6:7], v[6:7], v[38:39]
	scratch_store_b64 off, v[188:189], off offset:1284 ; 8-byte Folded Spill
	v_mul_f64 v[188:189], v[251:252], s[0:1]
	scratch_store_b64 off, v[6:7], off offset:1028 ; 8-byte Folded Spill
	scratch_load_b64 v[6:7], off, off offset:1012 ; 8-byte Folded Reload
	s_waitcnt vmcnt(0)
	v_add_f64 v[56:57], v[6:7], v[56:57]
	scratch_load_b64 v[6:7], off, off offset:996 ; 8-byte Folded Reload
	s_waitcnt vmcnt(0)
	v_add_f64 v[24:25], v[6:7], v[24:25]
	scratch_load_b64 v[6:7], off, off offset:980 ; 8-byte Folded Reload
	s_waitcnt vmcnt(0)
	v_add_f64 v[200:201], v[6:7], v[200:201]
	scratch_load_b64 v[6:7], off, off offset:1020 ; 8-byte Folded Reload
	s_waitcnt vmcnt(0)
	v_add_f64 v[6:7], v[241:242], -v[6:7]
	scratch_store_b64 off, v[12:13], off offset:1260 ; 8-byte Folded Spill
	scratch_load_b64 v[12:13], off, off offset:644 ; 8-byte Folded Reload
	v_mul_f64 v[241:242], v[221:222], s[20:21]
	scratch_store_b64 off, v[6:7], off offset:980 ; 8-byte Folded Spill
	scratch_load_b64 v[6:7], off, off offset:1004 ; 8-byte Folded Reload
	s_waitcnt vmcnt(0)
	v_add_f64 v[245:246], v[16:17], -v[6:7]
	scratch_load_b64 v[6:7], off, off offset:988 ; 8-byte Folded Reload
	v_fma_f64 v[16:17], v[174:175], s[20:21], -v[168:169]
	s_waitcnt vmcnt(0)
	v_add_f64 v[237:238], v[237:238], -v[6:7]
	scratch_load_b64 v[6:7], off, off offset:972 ; 8-byte Folded Reload
	s_waitcnt vmcnt(0)
	v_add_f64 v[216:217], v[216:217], -v[6:7]
	scratch_load_b64 v[6:7], off, off offset:964 ; 8-byte Folded Reload
	;; [unrolled: 3-line block ×3, first 2 shown]
	s_waitcnt vmcnt(0)
	v_add_f64 v[6:7], v[6:7], v[26:27]
	s_clause 0x1
	scratch_store_b64 off, v[34:35], off offset:1300
	scratch_store_b64 off, v[20:21], off offset:1220
	v_mul_f64 v[34:35], v[253:254], s[12:13]
	scratch_load_b64 v[20:21], off, off offset:628 ; 8-byte Folded Reload
	v_mul_f64 v[253:254], v[253:254], s[0:1]
	v_fma_f64 v[26:27], v[22:23], s[14:15], v[223:224]
	v_fma_f64 v[223:224], v[22:23], s[14:15], -v[223:224]
	v_mul_f64 v[22:23], v[22:23], s[20:21]
	scratch_store_b64 off, v[6:7], off offset:924 ; 8-byte Folded Spill
	scratch_load_b64 v[6:7], off, off offset:916 ; 8-byte Folded Reload
	s_waitcnt vmcnt(0)
	v_add_f64 v[30:31], v[6:7], v[30:31]
	scratch_load_b64 v[6:7], off, off offset:900 ; 8-byte Folded Reload
	s_waitcnt vmcnt(0)
	v_add_f64 v[34:35], v[6:7], v[34:35]
	;; [unrolled: 3-line block ×4, first 2 shown]
	scratch_load_b64 v[6:7], off, off offset:908 ; 8-byte Folded Reload
	s_waitcnt vmcnt(0)
	v_add_f64 v[50:51], v[50:51], -v[6:7]
	scratch_load_b64 v[6:7], off, off offset:884 ; 8-byte Folded Reload
	s_waitcnt vmcnt(0)
	v_add_f64 v[38:39], v[68:69], -v[6:7]
	scratch_load_b64 v[6:7], off, off offset:852 ; 8-byte Folded Reload
	v_dual_mov_b32 v68, v116 :: v_dual_mov_b32 v69, v117
	s_waitcnt vmcnt(0)
	v_add_f64 v[166:167], v[166:167], -v[6:7]
	scratch_load_b64 v[6:7], off, off offset:412 ; 8-byte Folded Reload
	s_waitcnt vmcnt(0)
	v_add_f64 v[190:191], v[190:191], v[6:7]
	scratch_load_b64 v[6:7], off, off offset:404 ; 8-byte Folded Reload
	s_waitcnt vmcnt(0)
	v_add_f64 v[52:53], v[52:53], v[6:7]
	;; [unrolled: 3-line block ×15, first 2 shown]
	scratch_load_b64 v[6:7], off, off offset:708 ; 8-byte Folded Reload
	s_waitcnt vmcnt(0)
	v_add_f64 v[22:23], v[22:23], -v[6:7]
	v_fma_f64 v[6:7], v[2:3], s[8:9], v[182:183]
	v_fma_f64 v[182:183], v[2:3], s[8:9], -v[182:183]
	v_mul_f64 v[2:3], v[2:3], s[10:11]
	s_delay_alu instid0(VALU_DEP_3) | instskip(NEXT) | instid1(VALU_DEP_2)
	v_add_f64 v[6:7], v[6:7], v[70:71]
	v_add_f64 v[2:3], v[2:3], -v[12:13]
	scratch_load_b64 v[12:13], off, off offset:652 ; 8-byte Folded Reload
	v_add_f64 v[6:7], v[108:109], v[6:7]
	s_waitcnt vmcnt(0)
	v_add_f64 v[4:5], v[4:5], -v[12:13]
	scratch_load_b64 v[12:13], off, off offset:556 ; 8-byte Folded Reload
	s_waitcnt vmcnt(0)
	v_add_f64 v[110:111], v[190:191], v[12:13]
	scratch_load_b64 v[12:13], off, off offset:548 ; 8-byte Folded Reload
	v_fma_f64 v[190:191], v[176:177], s[10:11], v[0:1]
	v_fma_f64 v[0:1], v[176:177], s[10:11], -v[0:1]
	v_mul_f64 v[176:177], v[176:177], s[0:1]
	s_delay_alu instid0(VALU_DEP_3)
	v_add_f64 v[6:7], v[190:191], v[6:7]
	s_waitcnt vmcnt(0)
	v_add_f64 v[52:53], v[52:53], v[12:13]
	scratch_load_b64 v[12:13], off, off offset:636 ; 8-byte Folded Reload
	s_waitcnt vmcnt(0)
	v_add_f64 v[176:177], v[176:177], -v[12:13]
	v_fma_f64 v[12:13], v[174:175], s[20:21], v[168:169]
	v_mul_f64 v[168:169], v[174:175], s[18:19]
	v_mul_f64 v[174:175], v[251:252], s[18:19]
	s_delay_alu instid0(VALU_DEP_3) | instskip(NEXT) | instid1(VALU_DEP_3)
	v_add_f64 v[6:7], v[12:13], v[6:7]
	v_add_f64 v[168:169], v[168:169], -v[20:21]
	scratch_load_b64 v[20:21], off, off offset:1044 ; 8-byte Folded Reload
	v_fma_f64 v[116:117], v[170:171], s[30:31], v[174:175]
	v_fma_f64 v[118:119], v[170:171], s[22:23], v[174:175]
	v_mul_f64 v[170:171], v[251:252], s[10:11]
	v_mul_f64 v[174:175], v[243:244], s[10:11]
	;; [unrolled: 1-line block ×4, first 2 shown]
	v_add_f64 v[6:7], v[26:27], v[6:7]
	s_delay_alu instid0(VALU_DEP_1)
	v_add_f64 v[6:7], v[120:121], v[6:7]
	s_waitcnt vmcnt(0)
	v_add_f64 v[170:171], v[20:21], v[170:171]
	scratch_load_b64 v[20:21], off, off offset:1036 ; 8-byte Folded Reload
	s_waitcnt vmcnt(0)
	v_add_f64 v[174:175], v[174:175], -v[20:21]
	scratch_load_b64 v[20:21], off, off offset:948 ; 8-byte Folded Reload
	s_waitcnt vmcnt(0)
	v_add_f64 v[196:197], v[20:21], v[196:197]
	scratch_load_b64 v[20:21], off, off offset:932 ; 8-byte Folded Reload
	s_waitcnt vmcnt(0)
	v_add_f64 v[210:211], v[210:211], -v[20:21]
	scratch_load_b64 v[20:21], off, off offset:860 ; 8-byte Folded Reload
	;; [unrolled: 6-line block ×6, first 2 shown]
	s_waitcnt vmcnt(0)
	v_add_f64 v[251:252], v[20:21], v[251:252]
	scratch_load_b64 v[20:21], off, off offset:460 ; 8-byte Folded Reload
	s_waitcnt vmcnt(0)
	v_add_f64 v[110:111], v[110:111], v[20:21]
	scratch_load_b64 v[20:21], off, off offset:452 ; 8-byte Folded Reload
	;; [unrolled: 3-line block ×3, first 2 shown]
	s_waitcnt vmcnt(0)
	v_add_f64 v[243:244], v[243:244], -v[20:21]
	scratch_load_b64 v[20:21], off, off offset:956 ; 8-byte Folded Reload
	s_waitcnt vmcnt(0)
	v_add_f64 v[249:250], v[20:21], v[249:250]
	scratch_load_b64 v[20:21], off, off offset:940 ; 8-byte Folded Reload
	s_waitcnt vmcnt(0)
	v_add_f64 v[90:91], v[90:91], -v[20:21]
	scratch_load_b64 v[20:21], off, off offset:868 ; 8-byte Folded Reload
	s_waitcnt vmcnt(0)
	v_add_f64 v[218:219], v[20:21], v[218:219]
	scratch_load_b64 v[20:21], off, off offset:844 ; 8-byte Folded Reload
	s_waitcnt vmcnt(0)
	v_add_f64 v[36:37], v[36:37], -v[20:21]
	v_mul_f64 v[20:21], v[227:228], s[20:21]
	s_delay_alu instid0(VALU_DEP_1) | instskip(SKIP_4) | instid1(VALU_DEP_1)
	v_add_f64 v[20:21], v[66:67], v[20:21]
	scratch_load_b64 v[66:67], off, off offset:780 ; 8-byte Folded Reload
	s_waitcnt vmcnt(0)
	v_add_f64 v[241:242], v[241:242], -v[66:67]
	v_mul_f64 v[66:67], v[227:228], s[10:11]
	v_add_f64 v[66:67], v[164:165], v[66:67]
	scratch_load_b64 v[164:165], off, off offset:748 ; 8-byte Folded Reload
	s_waitcnt vmcnt(0)
	v_add_f64 v[204:205], v[204:205], -v[164:165]
	scratch_load_b64 v[164:165], off, off offset:508 ; 8-byte Folded Reload
	s_waitcnt vmcnt(0)
	v_add_f64 v[110:111], v[110:111], v[164:165]
	scratch_load_b64 v[164:165], off, off offset:500 ; 8-byte Folded Reload
	s_waitcnt vmcnt(0)
	v_add_f64 v[52:53], v[52:53], v[164:165]
	v_mul_f64 v[164:165], v[227:228], s[24:25]
	s_delay_alu instid0(VALU_DEP_1)
	v_add_f64 v[164:165], v[192:193], v[164:165]
	s_clause 0x2
	scratch_load_b64 v[70:71], off, off offset:1284
	scratch_load_b64 v[192:193], off, off offset:1500
	;; [unrolled: 1-line block ×3, first 2 shown]
	s_waitcnt vmcnt(1)
	v_add_f64 v[192:193], v[192:193], v[70:71]
	scratch_load_b64 v[70:71], off, off offset:1292 ; 8-byte Folded Reload
	s_waitcnt vmcnt(1)
	v_add_f64 v[110:111], v[110:111], v[154:155]
	scratch_load_b64 v[154:155], off, off offset:468 ; 8-byte Folded Reload
	;; [unrolled: 3-line block ×3, first 2 shown]
	v_add_f64 v[8:9], v[8:9], v[182:183]
	s_delay_alu instid0(VALU_DEP_1) | instskip(NEXT) | instid1(VALU_DEP_1)
	v_add_f64 v[0:1], v[0:1], v[8:9]
	v_add_f64 v[0:1], v[16:17], v[0:1]
	s_delay_alu instid0(VALU_DEP_1)
	v_add_f64 v[0:1], v[223:224], v[0:1]
	s_waitcnt vmcnt(0)
	v_add_f64 v[180:181], v[180:181], v[70:71]
	scratch_load_b64 v[70:71], off, off offset:1308 ; 8-byte Folded Reload
	s_waitcnt vmcnt(0)
	v_add_f64 v[194:195], v[214:215], v[70:71]
	scratch_load_b64 v[70:71], off, off offset:1316 ; 8-byte Folded Reload
	;; [unrolled: 3-line block ×5, first 2 shown]
	v_add_f64 v[62:63], v[233:234], v[62:63]
	s_waitcnt vmcnt(0)
	v_add_f64 v[14:15], v[14:15], v[70:71]
	scratch_load_b64 v[70:71], off, off offset:1348 ; 8-byte Folded Reload
	v_add_f64 v[14:15], v[126:127], v[14:15]
	s_waitcnt vmcnt(0)
	v_add_f64 v[46:47], v[46:47], v[70:71]
	scratch_load_b64 v[70:71], off, off offset:1356 ; 8-byte Folded Reload
	;; [unrolled: 4-line block ×3, first 2 shown]
	v_add_f64 v[42:43], v[60:61], v[42:43]
	s_delay_alu instid0(VALU_DEP_1) | instskip(SKIP_4) | instid1(VALU_DEP_1)
	v_add_f64 v[42:43], v[212:213], v[42:43]
	s_waitcnt vmcnt(0)
	v_add_f64 v[200:201], v[200:201], v[70:71]
	scratch_load_b64 v[70:71], off, off offset:1372 ; 8-byte Folded Reload
	v_add_f64 v[24:25], v[24:25], v[200:201]
	v_add_f64 v[24:25], v[56:57], v[24:25]
	s_waitcnt vmcnt(0)
	v_add_f64 v[214:215], v[229:230], v[70:71]
	scratch_load_b64 v[70:71], off, off offset:1380 ; 8-byte Folded Reload
	v_mul_f64 v[229:230], v[221:222], s[24:25]
	v_add_f64 v[46:47], v[216:217], v[214:215]
	s_delay_alu instid0(VALU_DEP_1) | instskip(NEXT) | instid1(VALU_DEP_1)
	v_add_f64 v[46:47], v[237:238], v[46:47]
	v_add_f64 v[16:17], v[245:246], v[46:47]
	s_waitcnt vmcnt(0)
	v_add_f64 v[48:49], v[48:49], v[70:71]
	scratch_load_b64 v[70:71], off, off offset:1388 ; 8-byte Folded Reload
	v_add_f64 v[44:45], v[44:45], v[48:49]
	s_delay_alu instid0(VALU_DEP_1) | instskip(NEXT) | instid1(VALU_DEP_1)
	v_add_f64 v[34:35], v[34:35], v[44:45]
	v_add_f64 v[30:31], v[30:31], v[34:35]
	s_waitcnt vmcnt(0)
	v_add_f64 v[184:185], v[184:185], v[70:71]
	scratch_load_b64 v[70:71], off, off offset:1396 ; 8-byte Folded Reload
	v_add_f64 v[48:49], v[178:179], v[184:185]
	s_delay_alu instid0(VALU_DEP_1) | instskip(NEXT) | instid1(VALU_DEP_1)
	v_add_f64 v[44:45], v[166:167], v[48:49]
	v_add_f64 v[34:35], v[38:39], v[44:45]
	v_mul_f64 v[38:39], v[227:228], s[12:13]
	s_waitcnt vmcnt(0)
	v_add_f64 v[10:11], v[10:11], v[70:71]
	scratch_load_b64 v[70:71], off, off offset:1404 ; 8-byte Folded Reload
	v_add_f64 v[10:11], v[247:248], v[10:11]
	s_delay_alu instid0(VALU_DEP_1) | instskip(NEXT) | instid1(VALU_DEP_1)
	v_add_f64 v[10:11], v[253:254], v[10:11]
	v_add_f64 v[10:11], v[28:29], v[10:11]
	s_delay_alu instid0(VALU_DEP_1)
	v_add_f64 v[10:11], v[32:33], v[10:11]
	s_waitcnt vmcnt(0)
	v_add_f64 v[2:3], v[2:3], v[70:71]
	scratch_load_b64 v[70:71], off, off offset:1428 ; 8-byte Folded Reload
	v_add_f64 v[2:3], v[4:5], v[2:3]
	scratch_load_b64 v[4:5], off, off offset:388 ; 8-byte Folded Reload
	v_add_f64 v[2:3], v[176:177], v[2:3]
	s_delay_alu instid0(VALU_DEP_1) | instskip(NEXT) | instid1(VALU_DEP_1)
	v_add_f64 v[2:3], v[168:169], v[2:3]
	v_add_f64 v[2:3], v[22:23], v[2:3]
	s_waitcnt vmcnt(1)
	v_add_f64 v[18:19], v[70:71], v[18:19]
	scratch_load_b64 v[70:71], off, off offset:1420 ; 8-byte Folded Reload
	s_waitcnt vmcnt(0)
	v_add_f64 v[108:109], v[70:71], v[192:193]
	scratch_load_b64 v[70:71], off, off offset:1452 ; 8-byte Folded Reload
	v_dual_mov_b32 v193, v131 :: v_dual_mov_b32 v192, v130
	v_dual_mov_b32 v191, v129 :: v_dual_mov_b32 v190, v128
	s_waitcnt vmcnt(0)
	v_add_f64 v[180:181], v[70:71], v[180:181]
	scratch_load_b64 v[70:71], off, off offset:1484 ; 8-byte Folded Reload
	s_waitcnt vmcnt(0)
	v_add_f64 v[182:183], v[70:71], v[194:195]
	scratch_load_b64 v[70:71], off, off offset:1508 ; 8-byte Folded Reload
	;; [unrolled: 3-line block ×3, first 2 shown]
	s_waitcnt vmcnt(0)
	v_add_f64 v[58:59], v[70:71], v[58:59]
	s_clause 0x1
	scratch_load_b64 v[70:71], off, off offset:1220
	scratch_load_b64 v[60:61], off, off offset:396
	v_add_f64 v[52:53], v[52:53], v[154:155]
	scratch_load_b64 v[154:155], off, off offset:676 ; 8-byte Folded Reload
	v_add_f64 v[4:5], v[110:111], v[4:5]
	scratch_load_b64 v[110:111], off, off offset:620 ; 8-byte Folded Reload
	s_waitcnt vmcnt(3)
	v_add_f64 v[18:19], v[70:71], v[18:19]
	s_clause 0x1
	scratch_load_b128 v[128:131], off, off offset:804
	scratch_load_b64 v[70:71], off, off offset:1204
	s_waitcnt vmcnt(4)
	v_add_f64 v[52:53], v[52:53], v[60:61]
	v_mul_f64 v[60:61], v[227:228], s[8:9]
	s_clause 0x4
	scratch_load_b64 v[8:9], off, off offset:1244
	scratch_load_b64 v[26:27], off, off offset:1148
	;; [unrolled: 1-line block ×5, first 2 shown]
	s_waitcnt vmcnt(8)
	v_add_f64 v[229:230], v[229:230], -v[154:155]
	v_dual_mov_b32 v152, v206 :: v_dual_mov_b32 v153, v207
	v_dual_mov_b32 v154, v208 :: v_dual_mov_b32 v155, v209
	s_waitcnt vmcnt(7)
	v_add_f64 v[60:61], v[110:111], v[60:61]
	s_waitcnt vmcnt(5)
	v_add_f64 v[108:109], v[70:71], v[108:109]
	scratch_load_b64 v[70:71], off, off offset:1260 ; 8-byte Folded Reload
	s_waitcnt vmcnt(5)
	v_add_f64 v[8:9], v[8:9], v[180:181]
	s_waitcnt vmcnt(2)
	v_add_f64 v[4:5], v[4:5], v[48:49]
	scratch_load_b64 v[48:49], off, off offset:372 ; 8-byte Folded Reload
	s_waitcnt vmcnt(1)
	v_add_f64 v[110:111], v[70:71], v[182:183]
	scratch_load_b64 v[70:71], off, off offset:1436 ; 8-byte Folded Reload
	s_waitcnt vmcnt(1)
	v_add_f64 v[48:49], v[52:53], v[48:49]
	v_mul_f64 v[52:53], v[221:222], s[8:9]
	s_delay_alu instid0(VALU_DEP_1)
	v_add_f64 v[52:53], v[52:53], -v[56:57]
	scratch_load_b64 v[56:57], off, off offset:1164 ; 8-byte Folded Reload
	s_waitcnt vmcnt(1)
	v_add_f64 v[88:89], v[70:71], v[88:89]
	scratch_load_b64 v[70:71], off, off offset:1460 ; 8-byte Folded Reload
	s_waitcnt vmcnt(1)
	v_add_f64 v[18:19], v[56:57], v[18:19]
	v_add_f64 v[56:57], v[12:13], v[108:109]
	scratch_load_b64 v[12:13], off, off offset:1188 ; 8-byte Folded Reload
	s_waitcnt vmcnt(1)
	v_add_f64 v[58:59], v[70:71], v[58:59]
	scratch_load_b64 v[70:71], off, off offset:1492 ; 8-byte Folded Reload
	s_waitcnt vmcnt(1)
	v_add_f64 v[8:9], v[12:13], v[8:9]
	scratch_load_b64 v[12:13], off, off offset:1196 ; 8-byte Folded Reload
	v_add_f64 v[8:9], v[26:27], v[8:9]
	scratch_load_b64 v[26:27], off, off offset:1172 ; 8-byte Folded Reload
	v_add_f64 v[8:9], v[170:171], v[8:9]
	s_waitcnt vmcnt(2)
	v_add_f64 v[62:63], v[70:71], v[62:63]
	scratch_load_b64 v[70:71], off, off offset:1516 ; 8-byte Folded Reload
	s_waitcnt vmcnt(2)
	v_add_f64 v[108:109], v[12:13], v[110:111]
	scratch_load_b64 v[12:13], off, off offset:1236 ; 8-byte Folded Reload
	;; [unrolled: 3-line block ×4, first 2 shown]
	v_add_f64 v[44:45], v[26:27], v[88:89]
	scratch_load_b64 v[26:27], off, off offset:1212 ; 8-byte Folded Reload
	v_add_f64 v[44:45], v[196:197], v[44:45]
	s_waitcnt vmcnt(2)
	v_add_f64 v[40:41], v[70:71], v[40:41]
	s_waitcnt vmcnt(1)
	v_add_f64 v[58:59], v[12:13], v[58:59]
	scratch_load_b64 v[12:13], off, off offset:1412 ; 8-byte Folded Reload
	s_waitcnt vmcnt(0)
	v_add_f64 v[62:63], v[12:13], v[62:63]
	scratch_load_b64 v[12:13], off, off offset:1444 ; 8-byte Folded Reload
	v_add_f64 v[46:47], v[26:27], v[62:63]
	scratch_load_b64 v[26:27], off, off offset:1268 ; 8-byte Folded Reload
	v_add_f64 v[46:47], v[231:232], v[46:47]
	s_waitcnt vmcnt(1)
	v_add_f64 v[14:15], v[12:13], v[14:15]
	scratch_load_b64 v[12:13], off, off offset:1476 ; 8-byte Folded Reload
	s_waitcnt vmcnt(0)
	v_add_f64 v[40:41], v[12:13], v[40:41]
	scratch_load_b64 v[12:13], off, off offset:1092 ; 8-byte Folded Reload
	v_add_f64 v[40:41], v[26:27], v[40:41]
	s_clause 0x1
	scratch_load_b64 v[26:27], off, off offset:1052
	scratch_load_b64 v[22:23], off, off offset:348
	v_add_f64 v[40:41], v[202:203], v[40:41]
	s_waitcnt vmcnt(2)
	v_add_f64 v[42:43], v[12:13], v[42:43]
	scratch_load_b64 v[12:13], off, off offset:1028 ; 8-byte Folded Reload
	s_waitcnt vmcnt(0)
	v_add_f64 v[24:25], v[12:13], v[24:25]
	scratch_load_b64 v[12:13], off, off offset:364 ; 8-byte Folded Reload
	v_add_f64 v[24:25], v[26:27], v[24:25]
	scratch_load_b64 v[26:27], off, off offset:924 ; 8-byte Folded Reload
	v_add_f64 v[24:25], v[188:189], v[24:25]
	s_waitcnt vmcnt(1)
	v_add_f64 v[4:5], v[4:5], v[12:13]
	scratch_load_b64 v[12:13], off, off offset:356 ; 8-byte Folded Reload
	v_add_f64 v[4:5], v[4:5], v[22:23]
	scratch_load_b64 v[22:23], off, off offset:340 ; 8-byte Folded Reload
	s_waitcnt vmcnt(2)
	v_add_f64 v[26:27], v[26:27], v[30:31]
	v_add_f64 v[30:31], v[50:51], v[34:35]
	scratch_load_b64 v[34:35], off, off offset:980 ; 8-byte Folded Reload
	v_mul_f64 v[50:51], v[221:222], s[12:13]
	v_add_f64 v[62:63], v[64:65], v[30:31]
	v_add_f64 v[64:65], v[251:252], v[10:11]
	;; [unrolled: 1-line block ×3, first 2 shown]
	s_waitcnt vmcnt(2)
	v_add_f64 v[28:29], v[48:49], v[12:13]
	s_clause 0x1
	scratch_load_b64 v[48:49], off, off offset:1140
	scratch_load_b64 v[12:13], off, off offset:524
	s_waitcnt vmcnt(2)
	v_add_f64 v[16:17], v[34:35], v[16:17]
	scratch_load_b64 v[34:35], off, off offset:1076 ; 8-byte Folded Reload
	v_add_f64 v[16:17], v[186:187], v[16:17]
	s_waitcnt vmcnt(2)
	v_add_f64 v[48:49], v[48:49], v[108:109]
	s_waitcnt vmcnt(1)
	v_add_f64 v[38:39], v[12:13], v[38:39]
	scratch_load_b64 v[12:13], off, off offset:1132 ; 8-byte Folded Reload
	v_add_f64 v[48:49], v[174:175], v[48:49]
	s_waitcnt vmcnt(1)
	v_add_f64 v[34:35], v[34:35], v[42:43]
	scratch_load_b64 v[42:43], off, off offset:1228 ; 8-byte Folded Reload
	v_add_f64 v[8:9], v[90:91], v[48:49]
	v_add_f64 v[34:35], v[54:55], v[34:35]
	s_waitcnt vmcnt(1)
	v_add_f64 v[18:19], v[12:13], v[18:19]
	scratch_load_b64 v[12:13], off, off offset:892 ; 8-byte Folded Reload
	v_add_f64 v[18:19], v[116:117], v[18:19]
	v_dual_mov_b32 v117, v69 :: v_dual_mov_b32 v116, v68
	v_add_f64 v[68:69], v[243:244], v[2:3]
	s_waitcnt vmcnt(1)
	v_add_f64 v[14:15], v[42:43], v[14:15]
	scratch_load_b64 v[42:43], off, off offset:1180 ; 8-byte Folded Reload
	v_add_f64 v[2:3], v[124:125], v[18:19]
	scratch_load_b128 v[124:127], off, off offset:532 ; 16-byte Folded Reload
	v_add_f64 v[18:19], v[20:21], v[46:47]
	v_add_f64 v[20:21], v[204:205], v[34:35]
	;; [unrolled: 1-line block ×5, first 2 shown]
	s_waitcnt vmcnt(2)
	v_add_f64 v[12:13], v[12:13], v[56:57]
	scratch_load_b64 v[56:57], off, off offset:516 ; 8-byte Folded Reload
	v_add_f64 v[12:13], v[118:119], v[12:13]
	s_waitcnt vmcnt(2)
	v_add_f64 v[42:43], v[42:43], v[58:59]
	v_add_f64 v[58:59], v[239:240], v[26:27]
	;; [unrolled: 1-line block ×7, first 2 shown]
	s_waitcnt vmcnt(0)
	v_add_f64 v[50:51], v[50:51], -v[56:57]
	v_add_f64 v[56:57], v[122:123], v[0:1]
	scratch_load_b64 v[0:1], off, off offset:332 ; 8-byte Folded Reload
	v_add_f64 v[22:23], v[28:29], v[22:23]
	v_mul_f64 v[28:29], v[225:226], s[28:29]
	v_dual_mov_b32 v120, v148 :: v_dual_mov_b32 v121, v149
	v_dual_mov_b32 v122, v150 :: v_dual_mov_b32 v123, v151
	scratch_load_b128 v[148:151], off, off offset:564 ; 16-byte Folded Reload
	v_fma_f64 v[32:33], v[221:222], s[0:1], v[28:29]
	v_fma_f64 v[28:29], v[221:222], s[0:1], -v[28:29]
	s_waitcnt vmcnt(1)
	v_add_f64 v[88:89], v[4:5], v[0:1]
	scratch_load_b64 v[0:1], off, off offset:820 ; 8-byte Folded Reload
	v_add_f64 v[4:5], v[28:29], v[56:57]
	v_add_f64 v[28:29], v[52:53], v[62:63]
	s_waitcnt vmcnt(0)
	v_add_f64 v[108:109], v[22:23], v[0:1]
	v_add_f64 v[0:1], v[32:33], v[6:7]
	v_add_f64 v[6:7], v[172:173], v[12:13]
	v_add_f64 v[12:13], v[36:37], v[42:43]
	scratch_load_b64 v[36:37], off, off offset:828 ; 8-byte Folded Reload
	v_add_f64 v[22:23], v[66:67], v[40:41]
	v_add_f64 v[32:33], v[50:51], v[68:69]
	s_waitcnt vmcnt(0)
	v_add_f64 v[38:39], v[88:89], v[36:37]
	scratch_load_b64 v[36:37], off, off offset:1124 ; 8-byte Folded Reload
	s_waitcnt vmcnt(0)
	v_add_f64 v[36:37], v[108:109], v[36:37]
	ds_store_b128 v255, v[160:163] offset:8000
	ds_store_b128 v255, v[156:159] offset:8800
	;; [unrolled: 1-line block ×15, first 2 shown]
	ds_store_b128 v255, v[36:39]
	scratch_load_b128 v[0:3], off, off      ; 16-byte Folded Reload
	s_waitcnt vmcnt(0)
	ds_store_b128 v255, v[0:3] offset:12800
.LBB0_5:
	s_or_b32 exec_lo, exec_lo, s33
	v_add_co_u32 v0, s0, 0x3000, v198
	s_delay_alu instid0(VALU_DEP_1) | instskip(SKIP_1) | instid1(VALU_DEP_1)
	v_add_co_ci_u32_e64 v1, s0, 0, v199, s0
	v_add_co_u32 v12, s0, 0x3520, v198
	v_add_co_ci_u32_e64 v13, s0, 0, v199, s0
	s_waitcnt lgkmcnt(0)
	s_waitcnt_vscnt null, 0x0
	s_barrier
	buffer_gl0_inv
	s_clause 0x3
	global_load_b128 v[0:3], v[0:1], off offset:1312
	global_load_b128 v[4:7], v[12:13], off offset:1360
	;; [unrolled: 1-line block ×4, first 2 shown]
	v_add_co_u32 v20, s0, 0x4000, v198
	s_delay_alu instid0(VALU_DEP_1) | instskip(SKIP_4) | instid1(VALU_DEP_1)
	v_add_co_ci_u32_e64 v21, s0, 0, v199, s0
	s_clause 0x1
	global_load_b128 v[16:19], v[20:21], off offset:2656
	global_load_b128 v[20:23], v[20:21], off offset:4016
	v_add_co_u32 v32, s0, 0x5000, v198
	v_add_co_ci_u32_e64 v33, s0, 0, v199, s0
	v_add_co_u32 v36, s0, 0x6000, v198
	s_delay_alu instid0(VALU_DEP_1)
	v_add_co_ci_u32_e64 v37, s0, 0, v199, s0
	s_clause 0x3
	global_load_b128 v[24:27], v[32:33], off offset:1280
	global_load_b128 v[28:31], v[32:33], off offset:2640
	;; [unrolled: 1-line block ×4, first 2 shown]
	ds_load_b128 v[40:43], v255
	ds_load_b128 v[44:47], v255 offset:1360
	ds_load_b128 v[48:51], v255 offset:2720
	ds_load_b128 v[52:55], v255 offset:4080
	ds_load_b128 v[56:59], v255 offset:5440
	ds_load_b128 v[60:63], v255 offset:6800
	s_mov_b32 s0, 0x134454ff
	s_mov_b32 s1, 0xbfee6f0e
	;; [unrolled: 1-line block ×16, first 2 shown]
	s_waitcnt vmcnt(8) lgkmcnt(4)
	v_mul_f64 v[66:67], v[46:47], v[6:7]
	v_mul_f64 v[64:65], v[42:43], v[2:3]
	;; [unrolled: 1-line block ×4, first 2 shown]
	s_waitcnt vmcnt(7) lgkmcnt(3)
	v_mul_f64 v[68:69], v[50:51], v[10:11]
	v_mul_f64 v[10:11], v[48:49], v[10:11]
	s_waitcnt vmcnt(6) lgkmcnt(2)
	v_mul_f64 v[70:71], v[54:55], v[14:15]
	v_mul_f64 v[14:15], v[52:53], v[14:15]
	;; [unrolled: 3-line block ×4, first 2 shown]
	v_fma_f64 v[40:41], v[40:41], v[0:1], -v[64:65]
	v_fma_f64 v[42:43], v[42:43], v[0:1], v[2:3]
	v_fma_f64 v[0:1], v[44:45], v[4:5], -v[66:67]
	v_fma_f64 v[2:3], v[46:47], v[4:5], v[6:7]
	ds_load_b128 v[44:47], v255 offset:8160
	v_fma_f64 v[4:5], v[48:49], v[8:9], -v[68:69]
	v_fma_f64 v[6:7], v[50:51], v[8:9], v[10:11]
	ds_load_b128 v[8:11], v255 offset:9520
	ds_load_b128 v[64:67], v255 offset:10880
	v_fma_f64 v[48:49], v[52:53], v[12:13], -v[70:71]
	v_fma_f64 v[50:51], v[54:55], v[12:13], v[14:15]
	ds_load_b128 v[12:15], v255 offset:12240
	v_fma_f64 v[52:53], v[56:57], v[16:17], -v[88:89]
	v_fma_f64 v[54:55], v[58:59], v[16:17], v[18:19]
	v_fma_f64 v[16:17], v[60:61], v[20:21], -v[90:91]
	v_fma_f64 v[18:19], v[62:63], v[20:21], v[22:23]
	s_waitcnt vmcnt(3) lgkmcnt(3)
	v_mul_f64 v[68:69], v[46:47], v[26:27]
	v_mul_f64 v[26:27], v[44:45], v[26:27]
	s_waitcnt vmcnt(2) lgkmcnt(2)
	v_mul_f64 v[70:71], v[10:11], v[30:31]
	v_mul_f64 v[30:31], v[8:9], v[30:31]
	;; [unrolled: 3-line block ×4, first 2 shown]
	v_fma_f64 v[20:21], v[44:45], v[24:25], -v[68:69]
	v_fma_f64 v[22:23], v[46:47], v[24:25], v[26:27]
	v_fma_f64 v[8:9], v[8:9], v[28:29], -v[70:71]
	v_fma_f64 v[10:11], v[10:11], v[28:29], v[30:31]
	;; [unrolled: 2-line block ×4, first 2 shown]
	ds_store_b128 v255, v[40:43]
	ds_store_b128 v255, v[0:3] offset:1360
	ds_store_b128 v255, v[4:7] offset:2720
	;; [unrolled: 1-line block ×9, first 2 shown]
	s_waitcnt lgkmcnt(0)
	s_barrier
	buffer_gl0_inv
	ds_load_b128 v[0:3], v255 offset:12240
	ds_load_b128 v[4:7], v255 offset:4080
	;; [unrolled: 1-line block ×9, first 2 shown]
	ds_load_b128 v[36:39], v255
	s_waitcnt lgkmcnt(0)
	s_barrier
	buffer_gl0_inv
	v_add_f64 v[40:41], v[6:7], v[2:3]
	v_add_f64 v[46:47], v[4:5], v[0:1]
	;; [unrolled: 1-line block ×4, first 2 shown]
	v_add_f64 v[64:65], v[8:9], -v[12:13]
	v_add_f64 v[50:51], v[16:17], v[24:25]
	v_add_f64 v[48:49], v[20:21], v[28:29]
	v_add_f64 v[52:53], v[22:23], v[30:31]
	v_add_f64 v[56:57], v[32:33], v[4:5]
	v_add_f64 v[58:59], v[34:35], v[6:7]
	v_add_f64 v[60:61], v[36:37], v[16:17]
	v_add_f64 v[62:63], v[38:39], v[18:19]
	v_add_f64 v[66:67], v[4:5], -v[8:9]
	v_add_f64 v[68:69], v[0:1], -v[12:13]
	;; [unrolled: 1-line block ×5, first 2 shown]
	v_add_f64 v[54:55], v[18:19], v[26:27]
	v_add_f64 v[108:109], v[18:19], -v[26:27]
	v_add_f64 v[4:5], v[8:9], -v[4:5]
	;; [unrolled: 1-line block ×3, first 2 shown]
	v_fma_f64 v[40:41], v[40:41], -0.5, v[34:35]
	v_fma_f64 v[34:35], v[42:43], -0.5, v[34:35]
	v_add_f64 v[42:43], v[6:7], -v[2:3]
	v_add_f64 v[6:7], v[10:11], -v[6:7]
	v_fma_f64 v[44:45], v[44:45], -0.5, v[32:33]
	v_fma_f64 v[48:49], v[48:49], -0.5, v[36:37]
	;; [unrolled: 1-line block ×4, first 2 shown]
	v_add_f64 v[52:53], v[14:15], -v[2:3]
	v_fma_f64 v[32:33], v[46:47], -0.5, v[32:33]
	v_add_f64 v[46:47], v[10:11], -v[14:15]
	v_add_f64 v[8:9], v[56:57], v[8:9]
	v_add_f64 v[10:11], v[58:59], v[10:11]
	v_add_f64 v[56:57], v[18:19], -v[22:23]
	v_add_f64 v[18:19], v[22:23], -v[18:19]
	;; [unrolled: 1-line block ×3, first 2 shown]
	v_add_f64 v[22:23], v[62:63], v[22:23]
	v_add_f64 v[62:63], v[12:13], -v[0:1]
	v_add_f64 v[66:67], v[66:67], v[68:69]
	v_add_f64 v[88:89], v[88:89], v[90:91]
	v_fma_f64 v[38:39], v[54:55], -0.5, v[38:39]
	v_add_f64 v[54:55], v[16:17], -v[20:21]
	v_add_f64 v[16:17], v[20:21], -v[16:17]
	v_add_f64 v[60:61], v[60:61], v[20:21]
	v_add_f64 v[20:21], v[20:21], -v[28:29]
	v_fma_f64 v[68:69], v[64:65], s[0:1], v[40:41]
	v_fma_f64 v[40:41], v[64:65], s[8:9], v[40:41]
	;; [unrolled: 1-line block ×4, first 2 shown]
	v_add_f64 v[6:7], v[6:7], v[52:53]
	v_fma_f64 v[52:53], v[42:43], s[0:1], v[44:45]
	v_fma_f64 v[44:45], v[42:43], s[8:9], v[44:45]
	v_add_f64 v[8:9], v[8:9], v[12:13]
	v_add_f64 v[10:11], v[10:11], v[14:15]
	;; [unrolled: 1-line block ×4, first 2 shown]
	v_add_f64 v[62:63], v[24:25], -v[28:29]
	v_fma_f64 v[68:69], v[70:71], s[14:15], v[68:69]
	v_fma_f64 v[40:41], v[70:71], s[12:13], v[40:41]
	;; [unrolled: 1-line block ×6, first 2 shown]
	v_add_f64 v[70:71], v[28:29], -v[24:25]
	v_add_f64 v[28:29], v[60:61], v[28:29]
	v_fma_f64 v[52:53], v[46:47], s[12:13], v[52:53]
	v_fma_f64 v[44:45], v[46:47], s[14:15], v[44:45]
	;; [unrolled: 1-line block ×4, first 2 shown]
	v_add_f64 v[8:9], v[8:9], v[0:1]
	v_add_f64 v[10:11], v[10:11], v[2:3]
	;; [unrolled: 1-line block ×4, first 2 shown]
	v_add_f64 v[62:63], v[26:27], -v[30:31]
	v_fma_f64 v[68:69], v[6:7], s[10:11], v[68:69]
	v_fma_f64 v[6:7], v[6:7], s[10:11], v[40:41]
	;; [unrolled: 1-line block ×6, first 2 shown]
	v_add_f64 v[16:17], v[16:17], v[70:71]
	v_add_f64 v[70:71], v[30:31], -v[26:27]
	v_fma_f64 v[42:43], v[58:59], s[8:9], v[36:37]
	v_fma_f64 v[36:37], v[58:59], s[0:1], v[36:37]
	;; [unrolled: 1-line block ×10, first 2 shown]
	v_add_f64 v[24:25], v[28:29], v[24:25]
	v_add_f64 v[2:3], v[22:23], v[10:11]
	;; [unrolled: 1-line block ×3, first 2 shown]
	v_mul_f64 v[48:49], v[68:69], s[0:1]
	v_mul_f64 v[62:63], v[68:69], s[10:11]
	v_fma_f64 v[40:41], v[20:21], s[14:15], v[40:41]
	v_fma_f64 v[46:47], v[4:5], s[10:11], v[64:65]
	v_fma_f64 v[4:5], v[4:5], s[10:11], v[32:33]
	v_mul_f64 v[32:33], v[90:91], s[12:13]
	v_add_f64 v[18:19], v[18:19], v[70:71]
	v_fma_f64 v[30:31], v[108:109], s[12:13], v[42:43]
	v_fma_f64 v[36:37], v[108:109], s[14:15], v[36:37]
	v_mul_f64 v[60:61], v[52:53], s[14:15]
	v_mul_f64 v[58:59], v[34:35], s[12:13]
	v_fma_f64 v[42:43], v[110:111], s[14:15], v[88:89]
	v_fma_f64 v[20:21], v[20:21], s[12:13], v[50:51]
	;; [unrolled: 1-line block ×3, first 2 shown]
	v_mul_f64 v[50:51], v[6:7], s[0:1]
	v_mul_f64 v[6:7], v[6:7], s[18:19]
	;; [unrolled: 1-line block ×3, first 2 shown]
	v_fma_f64 v[26:27], v[54:55], s[10:11], v[12:13]
	v_fma_f64 v[54:55], v[54:55], s[10:11], v[14:15]
	v_add_f64 v[0:1], v[24:25], v[8:9]
	v_fma_f64 v[40:41], v[56:57], s[10:11], v[40:41]
	v_fma_f64 v[32:33], v[52:53], s[16:17], v[32:33]
	;; [unrolled: 1-line block ×14, first 2 shown]
	v_add_f64 v[4:5], v[24:25], -v[8:9]
	v_add_f64 v[6:7], v[22:23], -v[10:11]
	v_add_f64 v[8:9], v[26:27], v[32:33]
	v_add_f64 v[24:25], v[26:27], -v[32:33]
	v_add_f64 v[10:11], v[40:41], v[52:53]
	v_add_f64 v[12:13], v[28:29], v[36:37]
	v_add_f64 v[26:27], v[40:41], -v[52:53]
	v_add_f64 v[14:15], v[42:43], v[46:47]
	v_add_f64 v[28:29], v[28:29], -v[36:37]
	v_add_f64 v[16:17], v[30:31], v[48:49]
	v_add_f64 v[20:21], v[54:55], v[50:51]
	;; [unrolled: 1-line block ×3, first 2 shown]
	v_add_f64 v[32:33], v[30:31], -v[48:49]
	v_add_f64 v[22:23], v[56:57], v[44:45]
	v_add_f64 v[30:31], v[42:43], -v[46:47]
	v_add_f64 v[34:35], v[38:39], -v[58:59]
	;; [unrolled: 1-line block ×4, first 2 shown]
	ds_store_b128 v220, v[0:3]
	ds_store_b128 v220, v[8:11] offset:16
	ds_store_b128 v220, v[12:15] offset:32
	;; [unrolled: 1-line block ×9, first 2 shown]
	s_waitcnt lgkmcnt(0)
	s_barrier
	buffer_gl0_inv
	ds_load_b128 v[0:3], v255 offset:2720
	ds_load_b128 v[4:7], v255 offset:5440
	;; [unrolled: 1-line block ×8, first 2 shown]
	s_waitcnt lgkmcnt(7)
	v_mul_f64 v[32:33], v[86:87], v[2:3]
	s_waitcnt lgkmcnt(6)
	v_mul_f64 v[34:35], v[78:79], v[6:7]
	;; [unrolled: 2-line block ×3, first 2 shown]
	v_mul_f64 v[38:39], v[86:87], v[0:1]
	s_waitcnt lgkmcnt(4)
	v_mul_f64 v[40:41], v[82:83], v[14:15]
	v_mul_f64 v[42:43], v[78:79], v[4:5]
	;; [unrolled: 1-line block ×4, first 2 shown]
	s_waitcnt lgkmcnt(3)
	v_mul_f64 v[48:49], v[94:95], v[18:19]
	s_waitcnt lgkmcnt(2)
	v_mul_f64 v[50:51], v[106:107], v[22:23]
	;; [unrolled: 2-line block ×3, first 2 shown]
	v_mul_f64 v[54:55], v[106:107], v[20:21]
	s_waitcnt lgkmcnt(0)
	v_mul_f64 v[56:57], v[98:99], v[30:31]
	v_mul_f64 v[58:59], v[102:103], v[24:25]
	;; [unrolled: 1-line block ×4, first 2 shown]
	v_fma_f64 v[32:33], v[84:85], v[0:1], v[32:33]
	v_fma_f64 v[34:35], v[76:77], v[4:5], v[34:35]
	;; [unrolled: 1-line block ×3, first 2 shown]
	v_fma_f64 v[36:37], v[84:85], v[2:3], -v[38:39]
	v_fma_f64 v[12:13], v[80:81], v[12:13], v[40:41]
	v_fma_f64 v[38:39], v[76:77], v[6:7], -v[42:43]
	v_fma_f64 v[10:11], v[72:73], v[10:11], -v[44:45]
	;; [unrolled: 1-line block ×3, first 2 shown]
	v_fma_f64 v[16:17], v[92:93], v[16:17], v[48:49]
	v_fma_f64 v[20:21], v[104:105], v[20:21], v[50:51]
	;; [unrolled: 1-line block ×3, first 2 shown]
	v_fma_f64 v[22:23], v[104:105], v[22:23], -v[54:55]
	v_fma_f64 v[28:29], v[96:97], v[28:29], v[56:57]
	v_fma_f64 v[26:27], v[100:101], v[26:27], -v[58:59]
	v_fma_f64 v[18:19], v[92:93], v[18:19], -v[60:61]
	;; [unrolled: 1-line block ×3, first 2 shown]
	ds_load_b128 v[0:3], v255
	ds_load_b128 v[4:7], v255 offset:1360
	s_waitcnt lgkmcnt(0)
	s_barrier
	buffer_gl0_inv
	v_add_f64 v[56:57], v[0:1], v[32:33]
	v_add_f64 v[40:41], v[34:35], v[8:9]
	v_add_f64 v[62:63], v[2:3], v[36:37]
	v_add_f64 v[42:43], v[32:33], v[12:13]
	v_add_f64 v[68:69], v[32:33], -v[12:13]
	v_add_f64 v[44:45], v[38:39], v[10:11]
	v_add_f64 v[46:47], v[36:37], v[14:15]
	v_add_f64 v[58:59], v[36:37], -v[14:15]
	v_add_f64 v[60:61], v[38:39], -v[10:11]
	v_add_f64 v[48:49], v[20:21], v[24:25]
	v_add_f64 v[64:65], v[4:5], v[16:17]
	;; [unrolled: 1-line block ×6, first 2 shown]
	v_add_f64 v[70:71], v[18:19], -v[30:31]
	v_add_f64 v[72:73], v[16:17], -v[28:29]
	;; [unrolled: 1-line block ×16, first 2 shown]
	v_fma_f64 v[40:41], v[40:41], -0.5, v[0:1]
	v_add_f64 v[38:39], v[62:63], v[38:39]
	v_fma_f64 v[0:1], v[42:43], -0.5, v[0:1]
	v_add_f64 v[42:43], v[34:35], -v[8:9]
	v_fma_f64 v[44:45], v[44:45], -0.5, v[2:3]
	v_fma_f64 v[2:3], v[46:47], -0.5, v[2:3]
	v_add_f64 v[46:47], v[22:23], -v[26:27]
	v_fma_f64 v[48:49], v[48:49], -0.5, v[4:5]
	;; [unrolled: 3-line block ×3, first 2 shown]
	v_fma_f64 v[6:7], v[54:55], -0.5, v[6:7]
	v_add_f64 v[54:55], v[32:33], -v[34:35]
	v_add_f64 v[32:33], v[34:35], -v[32:33]
	v_add_f64 v[34:35], v[56:57], v[34:35]
	v_add_f64 v[20:21], v[64:65], v[20:21]
	;; [unrolled: 1-line block ×9, first 2 shown]
	v_fma_f64 v[56:57], v[58:59], s[0:1], v[40:41]
	v_fma_f64 v[40:41], v[58:59], s[8:9], v[40:41]
	;; [unrolled: 1-line block ×16, first 2 shown]
	v_add_f64 v[54:55], v[54:55], v[74:75]
	v_add_f64 v[32:33], v[32:33], v[76:77]
	;; [unrolled: 1-line block ×6, first 2 shown]
	v_fma_f64 v[24:25], v[60:61], s[12:13], v[56:57]
	v_fma_f64 v[26:27], v[60:61], s[14:15], v[40:41]
	;; [unrolled: 1-line block ×16, first 2 shown]
	v_add_f64 v[72:73], v[8:9], v[12:13]
	v_add_f64 v[74:75], v[10:11], v[14:15]
	v_add_f64 v[84:85], v[20:21], v[28:29]
	v_add_f64 v[86:87], v[22:23], v[30:31]
	v_fma_f64 v[164:165], v[54:55], s[10:11], v[24:25]
	v_fma_f64 v[80:81], v[54:55], s[10:11], v[26:27]
	;; [unrolled: 1-line block ×16, first 2 shown]
	ds_store_b128 v117, v[72:75]
	ds_store_b128 v117, v[164:167] offset:160
	ds_store_b128 v117, v[100:103] offset:320
	ds_store_b128 v117, v[76:79] offset:480
	ds_store_b128 v117, v[80:83] offset:640
	ds_store_b128 v116, v[84:87]
	ds_store_b128 v116, v[92:95] offset:160
	ds_store_b128 v116, v[96:99] offset:320
	;; [unrolled: 1-line block ×4, first 2 shown]
	s_waitcnt lgkmcnt(0)
	s_barrier
	buffer_gl0_inv
	s_and_saveexec_b32 s0, vcc_lo
	s_cbranch_execz .LBB0_7
; %bb.6:
	ds_load_b128 v[72:75], v255
	ds_load_b128 v[164:167], v255 offset:800
	ds_load_b128 v[100:103], v255 offset:1600
	;; [unrolled: 1-line block ×16, first 2 shown]
	s_waitcnt lgkmcnt(0)
	scratch_store_b128 off, v[0:3], off     ; 16-byte Folded Spill
.LBB0_7:
	s_or_b32 exec_lo, exec_lo, s0
	s_and_saveexec_b32 s33, vcc_lo
	s_cbranch_execz .LBB0_9
; %bb.8:
	s_clause 0x1
	scratch_load_b128 v[2:5], off, off offset:268
	scratch_load_b128 v[6:9], off, off
	v_mul_f64 v[0:1], v[114:115], v[166:167]
	s_clause 0x3
	scratch_load_b128 v[10:13], off, off offset:300
	scratch_load_b128 v[26:29], off, off offset:316
	;; [unrolled: 1-line block ×4, first 2 shown]
	s_mov_b32 s20, 0xeb564b22
	s_mov_b32 s24, 0x923c349f
	;; [unrolled: 1-line block ×33, first 2 shown]
	v_fma_f64 v[172:173], v[112:113], v[164:165], v[0:1]
	v_mul_f64 v[0:1], v[114:115], v[164:165]
	s_mov_b32 s47, 0xbfd183b1
	s_mov_b32 s43, 0x3fdc86fa
	;; [unrolled: 1-line block ×11, first 2 shown]
	s_clause 0x1
	scratch_load_b128 v[44:47], off, off offset:220
	scratch_load_b128 v[22:25], off, off offset:284
	v_fma_f64 v[164:165], v[112:113], v[166:167], -v[0:1]
	s_waitcnt vmcnt(6)
	v_mul_f64 v[0:1], v[4:5], v[8:9]
	s_waitcnt vmcnt(3)
	v_mul_f64 v[14:15], v[34:35], v[82:83]
	v_mul_f64 v[16:17], v[34:35], v[80:81]
	s_waitcnt vmcnt(2)
	v_mul_f64 v[42:43], v[40:41], v[124:125]
	s_delay_alu instid0(VALU_DEP_4)
	v_fma_f64 v[68:69], v[2:3], v[6:7], v[0:1]
	v_mul_f64 v[0:1], v[4:5], v[6:7]
	v_mul_f64 v[6:7], v[12:13], v[92:93]
	v_fma_f64 v[56:57], v[32:33], v[80:81], v[14:15]
	v_fma_f64 v[60:61], v[32:33], v[82:83], -v[16:17]
	s_waitcnt vmcnt(0)
	v_mul_f64 v[18:19], v[24:25], v[86:87]
	v_mul_f64 v[20:21], v[24:25], v[84:85]
	v_fma_f64 v[70:71], v[2:3], v[8:9], -v[0:1]
	scratch_load_b128 v[2:5], off, off offset:236 ; 16-byte Folded Reload
	v_mul_f64 v[8:9], v[28:29], v[158:159]
	v_fma_f64 v[84:85], v[22:23], v[84:85], v[18:19]
	v_fma_f64 v[86:87], v[22:23], v[86:87], -v[20:21]
	v_mul_f64 v[18:19], v[192:193], v[76:77]
	v_add_f64 v[24:25], v[164:165], -v[70:71]
	v_fma_f64 v[58:59], v[26:27], v[156:157], v[8:9]
	v_mul_f64 v[8:9], v[192:193], v[78:79]
	s_delay_alu instid0(VALU_DEP_3) | instskip(NEXT) | instid1(VALU_DEP_2)
	v_mul_f64 v[64:65], v[24:25], s[28:29]
	v_fma_f64 v[66:67], v[190:191], v[76:77], v[8:9]
	v_mul_f64 v[8:9], v[24:25], s[22:23]
	v_fma_f64 v[76:77], v[190:191], v[78:79], -v[18:19]
	v_mul_f64 v[18:19], v[24:25], s[0:1]
	v_add_f64 v[78:79], v[172:173], v[68:69]
	s_delay_alu instid0(VALU_DEP_1) | instskip(SKIP_1) | instid1(VALU_DEP_4)
	v_fma_f64 v[80:81], v[78:79], s[34:35], -v[8:9]
	v_fma_f64 v[8:9], v[78:79], s[34:35], v[8:9]
	v_fma_f64 v[88:89], v[78:79], s[40:41], -v[18:19]
	v_fma_f64 v[18:19], v[78:79], s[40:41], v[18:19]
	s_delay_alu instid0(VALU_DEP_3) | instskip(NEXT) | instid1(VALU_DEP_3)
	v_add_f64 v[178:179], v[72:73], v[8:9]
	v_add_f64 v[190:191], v[72:73], v[88:89]
	s_waitcnt vmcnt(0)
	v_mul_f64 v[0:1], v[4:5], v[102:103]
	s_delay_alu instid0(VALU_DEP_1) | instskip(SKIP_1) | instid1(VALU_DEP_1)
	v_fma_f64 v[116:117], v[2:3], v[100:101], v[0:1]
	v_mul_f64 v[0:1], v[4:5], v[100:101]
	v_fma_f64 v[110:111], v[2:3], v[102:103], -v[0:1]
	scratch_load_b128 v[2:5], off, off offset:252 ; 16-byte Folded Reload
	s_waitcnt vmcnt(0)
	v_mul_f64 v[0:1], v[4:5], v[154:155]
	s_delay_alu instid0(VALU_DEP_1) | instskip(SKIP_2) | instid1(VALU_DEP_3)
	v_fma_f64 v[100:101], v[2:3], v[152:153], v[0:1]
	v_mul_f64 v[0:1], v[4:5], v[152:153]
	v_mul_f64 v[4:5], v[146:147], v[162:163]
	v_add_f64 v[174:175], v[116:117], -v[100:101]
	s_delay_alu instid0(VALU_DEP_3) | instskip(SKIP_4) | instid1(VALU_DEP_4)
	v_fma_f64 v[102:103], v[2:3], v[154:155], -v[0:1]
	v_mul_f64 v[0:1], v[138:139], v[106:107]
	v_mul_f64 v[2:3], v[134:135], v[96:97]
	v_add_f64 v[166:167], v[116:117], v[100:101]
	v_mul_f64 v[216:217], v[174:175], s[28:29]
	v_fma_f64 v[108:109], v[136:137], v[104:105], v[0:1]
	v_mul_f64 v[0:1], v[138:139], v[104:105]
	v_fma_f64 v[114:115], v[132:133], v[98:99], -v[2:3]
	v_mul_f64 v[2:3], v[12:13], v[94:95]
	v_fma_f64 v[94:95], v[10:11], v[94:95], -v[6:7]
	v_add_f64 v[6:7], v[172:173], -v[68:69]
	v_mul_f64 v[12:13], v[122:123], v[148:149]
	v_fma_f64 v[138:139], v[78:79], s[38:39], v[64:65]
	v_fma_f64 v[64:65], v[78:79], s[38:39], -v[64:65]
	v_fma_f64 v[106:107], v[136:137], v[106:107], -v[0:1]
	v_mul_f64 v[0:1], v[142:143], v[170:171]
	v_fma_f64 v[92:93], v[10:11], v[92:93], v[2:3]
	v_mul_f64 v[2:3], v[46:47], v[128:129]
	v_mul_f64 v[10:11], v[40:41], v[126:127]
	;; [unrolled: 1-line block ×8, first 2 shown]
	v_fma_f64 v[22:23], v[120:121], v[150:151], -v[12:13]
	v_mul_f64 v[40:41], v[24:25], s[16:17]
	v_fma_f64 v[104:105], v[140:141], v[168:169], v[0:1]
	v_mul_f64 v[0:1], v[142:143], v[168:169]
	v_fma_f64 v[12:13], v[44:45], v[130:131], -v[2:3]
	v_fma_f64 v[2:3], v[38:39], v[126:127], -v[42:43]
	v_add_f64 v[168:169], v[110:111], -v[102:103]
	v_add_f64 v[126:127], v[72:73], v[18:19]
	v_add_f64 v[154:155], v[108:109], v[104:105]
	v_fma_f64 v[112:113], v[140:141], v[170:171], -v[0:1]
	v_mul_f64 v[0:1], v[134:135], v[98:99]
	v_fma_f64 v[98:99], v[144:145], v[160:161], v[4:5]
	v_mul_f64 v[4:5], v[122:123], v[150:151]
	s_delay_alu instid0(VALU_DEP_4) | instskip(NEXT) | instid1(VALU_DEP_4)
	v_add_f64 v[170:171], v[106:107], -v[112:113]
	v_fma_f64 v[96:97], v[132:133], v[96:97], v[0:1]
	v_mul_f64 v[0:1], v[146:147], v[160:161]
	s_delay_alu instid0(VALU_DEP_4)
	v_fma_f64 v[20:21], v[120:121], v[148:149], v[4:5]
	v_add_f64 v[4:5], v[164:165], v[70:71]
	v_add_f64 v[160:161], v[74:75], v[164:165]
	;; [unrolled: 1-line block ×4, first 2 shown]
	v_add_f64 v[64:65], v[60:61], -v[12:13]
	v_fma_f64 v[120:121], v[78:79], s[44:45], -v[40:41]
	v_fma_f64 v[40:41], v[78:79], s[44:45], v[40:41]
	v_mul_f64 v[212:213], v[170:171], s[20:21]
	v_add_f64 v[18:19], v[96:97], -v[98:99]
	v_fma_f64 v[118:119], v[144:145], v[162:163], -v[0:1]
	v_mul_f64 v[0:1], v[28:29], v[156:157]
	v_mul_f64 v[28:29], v[6:7], s[10:11]
	v_fma_f64 v[48:49], v[4:5], s[46:47], v[14:15]
	v_fma_f64 v[14:15], v[4:5], s[46:47], -v[14:15]
	v_fma_f64 v[50:51], v[4:5], s[44:45], v[16:17]
	v_fma_f64 v[16:17], v[4:5], s[44:45], -v[16:17]
	v_fma_f64 v[52:53], v[4:5], s[42:43], -v[32:33]
	v_fma_f64 v[54:55], v[4:5], s[38:39], -v[34:35]
	v_fma_f64 v[62:63], v[4:5], s[30:31], -v[36:37]
	v_fma_f64 v[32:33], v[4:5], s[42:43], v[32:33]
	v_fma_f64 v[34:35], v[4:5], s[38:39], v[34:35]
	v_add_f64 v[162:163], v[72:73], v[172:173]
	v_add_f64 v[172:173], v[110:111], v[102:103]
	v_add_f64 v[156:157], v[76:77], -v[2:3]
	v_add_f64 v[120:121], v[72:73], v[120:121]
	v_mul_f64 v[214:215], v[170:171], s[14:15]
	v_add_f64 v[110:111], v[160:161], v[110:111]
	v_mul_f64 v[240:241], v[170:171], s[22:23]
	v_mul_f64 v[204:205], v[18:19], s[24:25]
	v_fma_f64 v[122:123], v[26:27], v[158:159], -v[0:1]
	v_mul_f64 v[0:1], v[46:47], v[130:131]
	v_mul_f64 v[26:27], v[6:7], s[22:23]
	v_fma_f64 v[46:47], v[4:5], s[40:41], v[30:31]
	v_fma_f64 v[30:31], v[4:5], s[40:41], -v[30:31]
	v_add_f64 v[158:159], v[76:77], v[2:3]
	v_add_f64 v[130:131], v[74:75], v[52:53]
	;; [unrolled: 1-line block ×4, first 2 shown]
	v_mul_f64 v[54:55], v[64:65], s[8:9]
	v_add_f64 v[144:145], v[74:75], v[34:35]
	v_add_f64 v[34:35], v[86:87], v[22:23]
	;; [unrolled: 1-line block ×4, first 2 shown]
	v_fma_f64 v[6:7], v[44:45], v[128:129], v[0:1]
	v_fma_f64 v[0:1], v[38:39], v[124:125], v[10:11]
	v_mul_f64 v[10:11], v[24:25], s[10:11]
	v_mul_f64 v[38:39], v[24:25], s[24:25]
	v_fma_f64 v[42:43], v[4:5], s[34:35], v[26:27]
	v_fma_f64 v[26:27], v[4:5], s[34:35], -v[26:27]
	v_fma_f64 v[44:45], v[4:5], s[36:37], v[28:29]
	v_fma_f64 v[28:29], v[4:5], s[36:37], -v[28:29]
	v_fma_f64 v[4:5], v[4:5], s[30:31], v[36:37]
	v_mul_f64 v[36:37], v[24:25], s[18:19]
	v_mul_f64 v[24:25], v[24:25], s[26:27]
	v_add_f64 v[188:189], v[74:75], v[46:47]
	v_add_f64 v[134:135], v[74:75], v[30:31]
	;; [unrolled: 1-line block ×4, first 2 shown]
	v_mul_f64 v[46:47], v[168:169], s[12:13]
	v_add_f64 v[30:31], v[92:93], -v[58:59]
	v_add_f64 v[16:17], v[114:115], -v[118:119]
	;; [unrolled: 1-line block ×4, first 2 shown]
	v_fma_f64 v[82:83], v[78:79], s[36:37], -v[10:11]
	v_fma_f64 v[90:91], v[78:79], s[46:47], -v[38:39]
	v_fma_f64 v[10:11], v[78:79], s[36:37], v[10:11]
	v_add_f64 v[42:43], v[74:75], v[42:43]
	v_add_f64 v[180:181], v[74:75], v[44:45]
	v_mul_f64 v[44:45], v[174:175], s[12:13]
	v_add_f64 v[176:177], v[74:75], v[26:27]
	v_fma_f64 v[140:141], v[78:79], s[30:31], v[36:37]
	v_fma_f64 v[136:137], v[78:79], s[42:43], v[24:25]
	v_add_f64 v[184:185], v[74:75], v[28:29]
	v_add_f64 v[152:153], v[66:67], v[0:1]
	v_fma_f64 v[38:39], v[78:79], s[46:47], v[38:39]
	v_fma_f64 v[24:25], v[78:79], s[42:43], -v[24:25]
	v_fma_f64 v[8:9], v[166:167], s[30:31], -v[46:47]
	v_fma_f64 v[36:37], v[78:79], s[30:31], -v[36:37]
	v_add_f64 v[62:63], v[56:57], v[6:7]
	v_add_f64 v[78:79], v[72:73], v[40:41]
	v_fma_f64 v[46:47], v[166:167], s[30:31], v[46:47]
	v_add_f64 v[26:27], v[94:95], v[122:123]
	v_mul_f64 v[200:201], v[30:31], s[14:15]
	v_add_f64 v[28:29], v[94:95], -v[122:123]
	v_mul_f64 v[206:207], v[16:17], s[24:25]
	v_add_f64 v[66:67], v[116:117], v[66:67]
	v_mul_f64 v[52:53], v[150:151], s[8:9]
	v_mul_f64 v[48:49], v[164:165], s[10:11]
	v_add_f64 v[182:183], v[72:73], v[82:83]
	v_add_f64 v[80:81], v[72:73], v[90:91]
	;; [unrolled: 1-line block ×5, first 2 shown]
	v_mul_f64 v[50:51], v[156:157], s[10:11]
	v_add_f64 v[14:15], v[114:115], v[118:119]
	v_add_f64 v[194:195], v[72:73], v[140:141]
	;; [unrolled: 1-line block ×6, first 2 shown]
	v_fma_f64 v[4:5], v[172:173], s[30:31], v[44:45]
	v_add_f64 v[8:9], v[8:9], v[148:149]
	v_add_f64 v[148:149], v[60:61], v[12:13]
	;; [unrolled: 1-line block ×3, first 2 shown]
	v_add_f64 v[38:39], v[84:85], -v[20:21]
	v_fma_f64 v[44:45], v[172:173], s[30:31], -v[44:45]
	v_add_f64 v[142:143], v[72:73], v[24:25]
	v_add_f64 v[72:73], v[72:73], v[36:37]
	v_add_f64 v[36:37], v[86:87], -v[22:23]
	v_add_f64 v[32:33], v[84:85], v[20:21]
	v_add_f64 v[46:47], v[46:47], v[178:179]
	v_add_f64 v[24:25], v[92:93], v[58:59]
	v_mul_f64 v[202:203], v[28:29], s[14:15]
	v_add_f64 v[60:61], v[76:77], v[60:61]
	v_add_f64 v[56:57], v[66:67], v[56:57]
	v_mul_f64 v[66:67], v[174:175], s[22:23]
	v_mul_f64 v[76:77], v[174:175], s[0:1]
	;; [unrolled: 1-line block ×4, first 2 shown]
	v_fma_f64 v[10:11], v[158:159], s[36:37], v[48:49]
	v_fma_f64 v[48:49], v[158:159], s[36:37], -v[48:49]
	v_add_f64 v[4:5], v[4:5], v[42:43]
	v_mul_f64 v[196:197], v[38:39], s[0:1]
	v_add_f64 v[44:45], v[44:45], v[176:177]
	v_mul_f64 v[176:177], v[164:165], s[16:17]
	v_mul_f64 v[198:199], v[36:37], s[0:1]
	v_add_f64 v[60:61], v[60:61], v[86:87]
	v_add_f64 v[56:57], v[56:57], v[84:85]
	v_mul_f64 v[84:85], v[174:175], s[16:17]
	v_add_f64 v[4:5], v[10:11], v[4:5]
	v_fma_f64 v[10:11], v[152:153], s[36:37], -v[50:51]
	v_add_f64 v[44:45], v[48:49], v[44:45]
	v_fma_f64 v[48:49], v[152:153], s[36:37], v[50:51]
	v_fma_f64 v[50:51], v[154:155], s[44:45], v[212:213]
	;; [unrolled: 1-line block ×3, first 2 shown]
	v_fma_f64 v[176:177], v[158:159], s[44:45], -v[176:177]
	v_add_f64 v[60:61], v[60:61], v[94:95]
	v_add_f64 v[56:57], v[56:57], v[92:93]
	v_fma_f64 v[94:95], v[172:173], s[34:35], v[66:67]
	v_fma_f64 v[66:67], v[172:173], s[34:35], -v[66:67]
	v_add_f64 v[8:9], v[10:11], v[8:9]
	v_fma_f64 v[10:11], v[148:149], s[38:39], v[52:53]
	v_add_f64 v[46:47], v[48:49], v[46:47]
	v_fma_f64 v[48:49], v[148:149], s[38:39], -v[52:53]
	v_mul_f64 v[52:53], v[174:175], s[14:15]
	v_add_f64 v[60:61], v[60:61], v[114:115]
	v_add_f64 v[56:57], v[56:57], v[96:97]
	;; [unrolled: 1-line block ×4, first 2 shown]
	v_fma_f64 v[10:11], v[62:63], s[38:39], -v[54:55]
	v_add_f64 v[44:45], v[48:49], v[44:45]
	v_fma_f64 v[48:49], v[62:63], s[38:39], v[54:55]
	v_mul_f64 v[54:55], v[168:169], s[14:15]
	v_add_f64 v[60:61], v[60:61], v[106:107]
	v_add_f64 v[56:57], v[56:57], v[108:109]
	;; [unrolled: 1-line block ×3, first 2 shown]
	v_fma_f64 v[10:11], v[34:35], s[40:41], v[196:197]
	v_add_f64 v[46:47], v[48:49], v[46:47]
	v_fma_f64 v[48:49], v[34:35], s[40:41], -v[196:197]
	v_add_f64 v[60:61], v[60:61], v[112:113]
	v_add_f64 v[56:57], v[56:57], v[104:105]
	;; [unrolled: 1-line block ×3, first 2 shown]
	v_fma_f64 v[10:11], v[32:33], s[40:41], -v[198:199]
	v_add_f64 v[44:45], v[48:49], v[44:45]
	v_fma_f64 v[48:49], v[32:33], s[40:41], v[198:199]
	v_add_f64 v[60:61], v[60:61], v[118:119]
	v_add_f64 v[56:57], v[56:57], v[98:99]
	v_add_f64 v[8:9], v[10:11], v[8:9]
	v_fma_f64 v[10:11], v[26:27], s[42:43], v[200:201]
	v_add_f64 v[46:47], v[48:49], v[46:47]
	v_fma_f64 v[48:49], v[26:27], s[42:43], -v[200:201]
	v_add_f64 v[60:61], v[60:61], v[122:123]
	v_add_f64 v[56:57], v[56:57], v[58:59]
	;; [unrolled: 1-line block ×3, first 2 shown]
	v_fma_f64 v[10:11], v[24:25], s[42:43], -v[202:203]
	v_add_f64 v[44:45], v[48:49], v[44:45]
	v_fma_f64 v[48:49], v[24:25], s[42:43], v[202:203]
	v_add_f64 v[22:23], v[60:61], v[22:23]
	v_add_f64 v[20:21], v[56:57], v[20:21]
	v_mul_f64 v[60:61], v[168:169], s[22:23]
	v_add_f64 v[8:9], v[10:11], v[8:9]
	v_fma_f64 v[10:11], v[14:15], s[46:47], v[204:205]
	v_add_f64 v[46:47], v[48:49], v[46:47]
	v_fma_f64 v[48:49], v[14:15], s[46:47], -v[204:205]
	v_add_f64 v[12:13], v[22:23], v[12:13]
	v_fma_f64 v[114:115], v[166:167], s[34:35], -v[60:61]
	v_fma_f64 v[60:61], v[166:167], s[34:35], v[60:61]
	v_add_f64 v[6:7], v[20:21], v[6:7]
	v_add_f64 v[40:41], v[10:11], v[4:5]
	;; [unrolled: 1-line block ×3, first 2 shown]
	v_fma_f64 v[96:97], v[172:173], s[40:41], -v[76:77]
	v_fma_f64 v[98:99], v[172:173], s[44:45], -v[84:85]
	v_fma_f64 v[76:77], v[172:173], s[40:41], v[76:77]
	v_add_f64 v[44:45], v[48:49], v[44:45]
	v_fma_f64 v[84:85], v[172:173], s[44:45], v[84:85]
	v_add_f64 v[2:3], v[12:13], v[2:3]
	v_add_f64 v[60:61], v[60:61], v[78:79]
	;; [unrolled: 1-line block ×3, first 2 shown]
	v_fma_f64 v[4:5], v[10:11], s[46:47], -v[206:207]
	v_fma_f64 v[48:49], v[10:11], s[46:47], v[206:207]
	v_add_f64 v[76:77], v[76:77], v[136:137]
	v_add_f64 v[84:85], v[84:85], v[144:145]
	;; [unrolled: 1-line block ×5, first 2 shown]
	v_add_f64 v[8:9], v[108:109], -v[104:105]
	v_add_f64 v[4:5], v[106:107], v[112:113]
	v_add_f64 v[48:49], v[48:49], v[46:47]
	v_mul_f64 v[106:107], v[168:169], s[0:1]
	v_mul_f64 v[108:109], v[168:169], s[16:17]
	v_fma_f64 v[104:105], v[172:173], s[38:39], v[216:217]
	v_add_f64 v[2:3], v[2:3], v[70:71]
	v_add_f64 v[0:1], v[0:1], v[68:69]
	v_mul_f64 v[210:211], v[8:9], s[20:21]
	v_mul_f64 v[238:239], v[8:9], s[22:23]
	v_fma_f64 v[116:117], v[166:167], s[40:41], v[106:107]
	v_fma_f64 v[106:107], v[166:167], s[40:41], -v[106:107]
	v_fma_f64 v[118:119], v[166:167], s[44:45], v[108:109]
	v_fma_f64 v[108:109], v[166:167], s[44:45], -v[108:109]
	v_add_f64 v[74:75], v[104:105], v[74:75]
	v_mul_f64 v[104:105], v[150:151], s[12:13]
	v_fma_f64 v[46:47], v[4:5], s[44:45], -v[210:211]
	v_fma_f64 v[42:43], v[4:5], s[44:45], v[210:211]
	v_mul_f64 v[210:211], v[8:9], s[24:25]
	v_add_f64 v[78:79], v[106:107], v[142:143]
	v_mul_f64 v[106:107], v[150:151], s[50:51]
	v_add_f64 v[46:47], v[46:47], v[44:45]
	v_add_f64 v[44:45], v[50:51], v[48:49]
	v_fma_f64 v[48:49], v[172:173], s[42:43], v[52:53]
	v_fma_f64 v[50:51], v[166:167], s[42:43], -v[54:55]
	v_fma_f64 v[52:53], v[172:173], s[42:43], -v[52:53]
	v_fma_f64 v[54:55], v[166:167], s[42:43], v[54:55]
	v_add_f64 v[42:43], v[42:43], v[40:41]
	v_fma_f64 v[40:41], v[154:155], s[44:45], -v[212:213]
	v_mul_f64 v[212:213], v[170:171], s[24:25]
	v_add_f64 v[48:49], v[48:49], v[180:181]
	v_add_f64 v[50:51], v[50:51], v[182:183]
	v_add_f64 v[52:53], v[52:53], v[184:185]
	v_add_f64 v[54:55], v[54:55], v[186:187]
	v_mul_f64 v[184:185], v[174:175], s[50:51]
	v_mul_f64 v[186:187], v[168:169], s[50:51]
	v_add_f64 v[40:41], v[40:41], v[208:209]
	v_add_f64 v[48:49], v[178:179], v[48:49]
	v_mul_f64 v[178:179], v[156:157], s[16:17]
	v_add_f64 v[52:53], v[176:177], v[52:53]
	v_fma_f64 v[86:87], v[172:173], s[46:47], -v[184:185]
	v_fma_f64 v[110:111], v[166:167], s[46:47], v[186:187]
	s_delay_alu instid0(VALU_DEP_4)
	v_fma_f64 v[180:181], v[152:153], s[44:45], -v[178:179]
	v_fma_f64 v[176:177], v[152:153], s[44:45], v[178:179]
	v_fma_f64 v[178:179], v[154:155], s[46:47], v[212:213]
	v_add_f64 v[86:87], v[86:87], v[134:135]
	v_mul_f64 v[134:135], v[156:157], s[8:9]
	v_add_f64 v[110:111], v[110:111], v[126:127]
	v_add_f64 v[50:51], v[180:181], v[50:51]
	v_mul_f64 v[180:181], v[150:151], s[48:49]
	v_add_f64 v[54:55], v[176:177], v[54:55]
	s_delay_alu instid0(VALU_DEP_2) | instskip(SKIP_1) | instid1(VALU_DEP_2)
	v_fma_f64 v[182:183], v[148:149], s[40:41], v[180:181]
	v_fma_f64 v[176:177], v[148:149], s[40:41], -v[180:181]
	v_add_f64 v[48:49], v[182:183], v[48:49]
	v_mul_f64 v[182:183], v[64:65], s[48:49]
	s_delay_alu instid0(VALU_DEP_3) | instskip(NEXT) | instid1(VALU_DEP_2)
	v_add_f64 v[52:53], v[176:177], v[52:53]
	v_fma_f64 v[196:197], v[62:63], s[40:41], -v[182:183]
	v_fma_f64 v[176:177], v[62:63], s[40:41], v[182:183]
	s_delay_alu instid0(VALU_DEP_2) | instskip(SKIP_1) | instid1(VALU_DEP_3)
	v_add_f64 v[50:51], v[196:197], v[50:51]
	v_mul_f64 v[196:197], v[38:39], s[18:19]
	v_add_f64 v[54:55], v[176:177], v[54:55]
	s_delay_alu instid0(VALU_DEP_2) | instskip(SKIP_2) | instid1(VALU_DEP_3)
	v_fma_f64 v[198:199], v[34:35], s[30:31], v[196:197]
	v_fma_f64 v[176:177], v[34:35], s[30:31], -v[196:197]
	v_mul_f64 v[196:197], v[150:151], s[10:11]
	v_add_f64 v[48:49], v[198:199], v[48:49]
	v_mul_f64 v[198:199], v[36:37], s[18:19]
	s_delay_alu instid0(VALU_DEP_4) | instskip(NEXT) | instid1(VALU_DEP_2)
	v_add_f64 v[52:53], v[176:177], v[52:53]
	v_fma_f64 v[200:201], v[32:33], s[30:31], -v[198:199]
	v_fma_f64 v[176:177], v[32:33], s[30:31], v[198:199]
	v_mul_f64 v[198:199], v[64:65], s[10:11]
	s_delay_alu instid0(VALU_DEP_3) | instskip(SKIP_1) | instid1(VALU_DEP_4)
	v_add_f64 v[50:51], v[200:201], v[50:51]
	v_mul_f64 v[200:201], v[30:31], s[22:23]
	v_add_f64 v[54:55], v[176:177], v[54:55]
	s_delay_alu instid0(VALU_DEP_2) | instskip(SKIP_2) | instid1(VALU_DEP_3)
	v_fma_f64 v[202:203], v[26:27], s[34:35], v[200:201]
	v_fma_f64 v[176:177], v[26:27], s[34:35], -v[200:201]
	v_mul_f64 v[200:201], v[38:39], s[20:21]
	v_add_f64 v[48:49], v[202:203], v[48:49]
	v_mul_f64 v[202:203], v[28:29], s[22:23]
	s_delay_alu instid0(VALU_DEP_4) | instskip(NEXT) | instid1(VALU_DEP_2)
	v_add_f64 v[52:53], v[176:177], v[52:53]
	v_fma_f64 v[204:205], v[24:25], s[34:35], -v[202:203]
	v_fma_f64 v[176:177], v[24:25], s[34:35], v[202:203]
	v_mul_f64 v[202:203], v[36:37], s[20:21]
	s_delay_alu instid0(VALU_DEP_3) | instskip(SKIP_1) | instid1(VALU_DEP_4)
	v_add_f64 v[50:51], v[204:205], v[50:51]
	v_mul_f64 v[204:205], v[18:19], s[8:9]
	v_add_f64 v[54:55], v[176:177], v[54:55]
	s_delay_alu instid0(VALU_DEP_2) | instskip(SKIP_2) | instid1(VALU_DEP_3)
	v_fma_f64 v[206:207], v[14:15], s[38:39], v[204:205]
	v_fma_f64 v[176:177], v[14:15], s[38:39], -v[204:205]
	v_mul_f64 v[204:205], v[30:31], s[28:29]
	v_add_f64 v[48:49], v[206:207], v[48:49]
	v_mul_f64 v[206:207], v[16:17], s[8:9]
	s_delay_alu instid0(VALU_DEP_4) | instskip(NEXT) | instid1(VALU_DEP_2)
	v_add_f64 v[52:53], v[176:177], v[52:53]
	v_fma_f64 v[176:177], v[10:11], s[38:39], v[206:207]
	v_fma_f64 v[208:209], v[10:11], s[38:39], -v[206:207]
	v_mul_f64 v[206:207], v[28:29], s[28:29]
	s_delay_alu instid0(VALU_DEP_3) | instskip(SKIP_1) | instid1(VALU_DEP_4)
	v_add_f64 v[176:177], v[176:177], v[54:55]
	v_fma_f64 v[54:55], v[4:5], s[46:47], -v[210:211]
	v_add_f64 v[208:209], v[208:209], v[50:51]
	v_fma_f64 v[50:51], v[4:5], s[46:47], v[210:211]
	v_mul_f64 v[210:211], v[16:17], s[22:23]
	s_delay_alu instid0(VALU_DEP_4)
	v_add_f64 v[54:55], v[54:55], v[52:53]
	v_add_f64 v[52:53], v[178:179], v[176:177]
	v_fma_f64 v[176:177], v[172:173], s[46:47], v[184:185]
	v_fma_f64 v[178:179], v[166:167], s[46:47], -v[186:187]
	v_add_f64 v[50:51], v[50:51], v[48:49]
	v_fma_f64 v[48:49], v[154:155], s[46:47], -v[212:213]
	v_mul_f64 v[212:213], v[8:9], s[14:15]
	v_add_f64 v[176:177], v[176:177], v[188:189]
	v_mul_f64 v[188:189], v[164:165], s[18:19]
	v_add_f64 v[178:179], v[178:179], v[190:191]
	;; [unrolled: 2-line block ×3, first 2 shown]
	v_mul_f64 v[208:209], v[18:19], s[22:23]
	v_fma_f64 v[180:181], v[158:159], s[30:31], v[188:189]
	s_delay_alu instid0(VALU_DEP_1) | instskip(SKIP_2) | instid1(VALU_DEP_2)
	v_add_f64 v[176:177], v[180:181], v[176:177]
	v_fma_f64 v[180:181], v[152:153], s[30:31], -v[190:191]
	v_fma_f64 v[190:191], v[152:153], s[30:31], v[190:191]
	v_add_f64 v[178:179], v[180:181], v[178:179]
	v_fma_f64 v[180:181], v[148:149], s[36:37], v[196:197]
	s_delay_alu instid0(VALU_DEP_3) | instskip(NEXT) | instid1(VALU_DEP_2)
	v_add_f64 v[110:111], v[190:191], v[110:111]
	v_add_f64 v[176:177], v[180:181], v[176:177]
	v_fma_f64 v[180:181], v[62:63], s[36:37], -v[198:199]
	s_delay_alu instid0(VALU_DEP_1) | instskip(SKIP_1) | instid1(VALU_DEP_1)
	v_add_f64 v[178:179], v[180:181], v[178:179]
	v_fma_f64 v[180:181], v[34:35], s[44:45], v[200:201]
	v_add_f64 v[176:177], v[180:181], v[176:177]
	v_fma_f64 v[180:181], v[32:33], s[44:45], -v[202:203]
	s_delay_alu instid0(VALU_DEP_1) | instskip(SKIP_1) | instid1(VALU_DEP_1)
	v_add_f64 v[178:179], v[180:181], v[178:179]
	v_fma_f64 v[180:181], v[26:27], s[38:39], v[204:205]
	;; [unrolled: 5-line block ×4, first 2 shown]
	v_add_f64 v[178:179], v[178:179], v[176:177]
	v_fma_f64 v[176:177], v[154:155], s[42:43], -v[214:215]
	s_delay_alu instid0(VALU_DEP_1) | instskip(SKIP_1) | instid1(VALU_DEP_1)
	v_add_f64 v[176:177], v[176:177], v[180:181]
	v_fma_f64 v[180:181], v[172:173], s[38:39], -v[216:217]
	v_add_f64 v[180:181], v[180:181], v[192:193]
	v_mul_f64 v[192:193], v[168:169], s[28:29]
	s_mov_b32 s29, 0x3fc7851a
	s_mov_b32 s28, s22
	s_delay_alu instid0(VALU_DEP_1) | instskip(SKIP_2) | instid1(VALU_DEP_3)
	v_fma_f64 v[182:183], v[166:167], s[38:39], v[192:193]
	v_fma_f64 v[122:123], v[166:167], s[38:39], -v[192:193]
	v_mul_f64 v[192:193], v[156:157], s[28:29]
	v_add_f64 v[182:183], v[182:183], v[194:195]
	v_mul_f64 v[194:195], v[164:165], s[26:27]
	s_delay_alu instid0(VALU_DEP_4) | instskip(NEXT) | instid1(VALU_DEP_2)
	v_add_f64 v[72:73], v[122:123], v[72:73]
	v_fma_f64 v[218:219], v[158:159], s[42:43], -v[194:195]
	s_delay_alu instid0(VALU_DEP_1) | instskip(SKIP_1) | instid1(VALU_DEP_1)
	v_add_f64 v[180:181], v[218:219], v[180:181]
	v_mul_f64 v[218:219], v[156:157], s[26:27]
	v_fma_f64 v[220:221], v[152:153], s[42:43], v[218:219]
	s_delay_alu instid0(VALU_DEP_1) | instskip(SKIP_1) | instid1(VALU_DEP_1)
	v_add_f64 v[182:183], v[220:221], v[182:183]
	v_mul_f64 v[220:221], v[150:151], s[16:17]
	v_fma_f64 v[222:223], v[148:149], s[44:45], -v[220:221]
	v_fma_f64 v[124:125], v[148:149], s[44:45], v[220:221]
	s_delay_alu instid0(VALU_DEP_2) | instskip(SKIP_1) | instid1(VALU_DEP_1)
	v_add_f64 v[180:181], v[222:223], v[180:181]
	v_mul_f64 v[222:223], v[64:65], s[16:17]
	v_fma_f64 v[224:225], v[62:63], s[44:45], v[222:223]
	s_delay_alu instid0(VALU_DEP_1) | instskip(SKIP_1) | instid1(VALU_DEP_1)
	v_add_f64 v[182:183], v[224:225], v[182:183]
	v_mul_f64 v[224:225], v[38:39], s[24:25]
	v_fma_f64 v[226:227], v[34:35], s[46:47], -v[224:225]
	s_delay_alu instid0(VALU_DEP_1) | instskip(SKIP_3) | instid1(SALU_CYCLE_1)
	v_add_f64 v[180:181], v[226:227], v[180:181]
	v_mul_f64 v[226:227], v[36:37], s[24:25]
	s_mov_b32 s25, 0x3fe0d888
	s_mov_b32 s24, s10
	v_mul_f64 v[58:59], v[174:175], s[24:25]
	v_mul_f64 v[56:57], v[168:169], s[24:25]
	v_fma_f64 v[168:169], v[158:159], s[30:31], -v[188:189]
	v_mul_f64 v[188:189], v[156:157], s[50:51]
	v_mul_f64 v[156:157], v[156:157], s[0:1]
	v_fma_f64 v[174:175], v[158:159], s[46:47], v[162:163]
	v_fma_f64 v[162:163], v[158:159], s[46:47], -v[162:163]
	v_fma_f64 v[228:229], v[32:33], s[46:47], v[226:227]
	v_fma_f64 v[92:93], v[172:173], s[36:37], v[58:59]
	v_fma_f64 v[58:59], v[172:173], s[36:37], -v[58:59]
	v_fma_f64 v[112:113], v[166:167], s[36:37], -v[56:57]
	v_fma_f64 v[56:57], v[166:167], s[36:37], v[56:57]
	v_mul_f64 v[166:167], v[164:165], s[28:29]
	v_mul_f64 v[164:165], v[164:165], s[0:1]
	v_fma_f64 v[172:173], v[158:159], s[38:39], v[160:161]
	v_fma_f64 v[160:161], v[158:159], s[38:39], -v[160:161]
	v_fma_f64 v[216:217], v[152:153], s[46:47], -v[188:189]
	v_fma_f64 v[242:243], v[152:153], s[40:41], v[156:157]
	v_fma_f64 v[156:157], v[152:153], s[40:41], -v[156:157]
	v_add_f64 v[86:87], v[168:169], v[86:87]
	v_fma_f64 v[188:189], v[152:153], s[46:47], v[188:189]
	v_add_f64 v[182:183], v[228:229], v[182:183]
	v_mul_f64 v[228:229], v[30:31], s[0:1]
	v_add_f64 v[92:93], v[92:93], v[128:129]
	v_add_f64 v[22:23], v[58:59], v[82:83]
	;; [unrolled: 1-line block ×4, first 2 shown]
	v_fma_f64 v[184:185], v[158:159], s[34:35], -v[166:167]
	v_fma_f64 v[166:167], v[158:159], s[34:35], v[166:167]
	v_fma_f64 v[186:187], v[158:159], s[40:41], -v[164:165]
	v_fma_f64 v[164:165], v[158:159], s[40:41], v[164:165]
	v_fma_f64 v[158:159], v[158:159], s[42:43], v[194:195]
	v_fma_f64 v[194:195], v[152:153], s[38:39], -v[134:135]
	v_fma_f64 v[134:135], v[152:153], s[38:39], v[134:135]
	v_add_f64 v[58:59], v[94:95], v[90:91]
	v_add_f64 v[80:81], v[114:115], v[120:121]
	;; [unrolled: 1-line block ×7, first 2 shown]
	v_fma_f64 v[112:113], v[148:149], s[36:37], -v[196:197]
	v_mul_f64 v[98:99], v[150:151], s[26:27]
	v_fma_f64 v[116:117], v[148:149], s[30:31], v[104:105]
	v_mul_f64 v[108:109], v[150:151], s[22:23]
	v_fma_f64 v[118:119], v[148:149], s[46:47], -v[106:107]
	v_fma_f64 v[106:107], v[148:149], s[46:47], v[106:107]
	v_add_f64 v[60:61], v[188:189], v[60:61]
	v_fma_f64 v[104:105], v[148:149], s[30:31], -v[104:105]
	v_fma_f64 v[230:231], v[26:27], s[40:41], -v[228:229]
	v_add_f64 v[92:93], v[172:173], v[92:93]
	v_add_f64 v[22:23], v[160:161], v[22:23]
	;; [unrolled: 1-line block ×14, first 2 shown]
	v_mul_f64 v[96:97], v[64:65], s[26:27]
	v_add_f64 v[86:87], v[112:113], v[86:87]
	v_fma_f64 v[114:115], v[148:149], s[42:43], v[98:99]
	v_fma_f64 v[98:99], v[148:149], s[42:43], -v[98:99]
	v_mul_f64 v[112:113], v[64:65], s[50:51]
	v_fma_f64 v[120:121], v[148:149], s[34:35], -v[108:109]
	v_fma_f64 v[108:109], v[148:149], s[34:35], v[108:109]
	v_add_f64 v[180:181], v[230:231], v[180:181]
	v_mul_f64 v[230:231], v[28:29], s[0:1]
	v_add_f64 v[74:75], v[124:125], v[74:75]
	v_add_f64 v[12:13], v[116:117], v[12:13]
	;; [unrolled: 1-line block ×6, first 2 shown]
	v_fma_f64 v[116:117], v[62:63], s[46:47], v[112:113]
	v_fma_f64 v[112:113], v[62:63], s[46:47], -v[112:113]
	v_add_f64 v[80:81], v[120:121], v[80:81]
	v_fma_f64 v[232:233], v[24:25], s[40:41], v[230:231]
	s_delay_alu instid0(VALU_DEP_1) | instskip(SKIP_1) | instid1(VALU_DEP_1)
	v_add_f64 v[182:183], v[232:233], v[182:183]
	v_mul_f64 v[232:233], v[18:19], s[10:11]
	v_fma_f64 v[234:235], v[14:15], s[36:37], -v[232:233]
	s_delay_alu instid0(VALU_DEP_1) | instskip(SKIP_1) | instid1(VALU_DEP_1)
	v_add_f64 v[180:181], v[234:235], v[180:181]
	v_mul_f64 v[234:235], v[16:17], s[10:11]
	v_fma_f64 v[236:237], v[10:11], s[36:37], v[234:235]
	s_delay_alu instid0(VALU_DEP_1) | instskip(SKIP_1) | instid1(VALU_DEP_1)
	v_add_f64 v[236:237], v[236:237], v[182:183]
	v_fma_f64 v[182:183], v[4:5], s[34:35], -v[238:239]
	v_add_f64 v[182:183], v[182:183], v[180:181]
	v_fma_f64 v[180:181], v[154:155], s[34:35], v[240:241]
	s_delay_alu instid0(VALU_DEP_1) | instskip(SKIP_3) | instid1(VALU_DEP_3)
	v_add_f64 v[180:181], v[180:181], v[236:237]
	v_fma_f64 v[236:237], v[152:153], s[34:35], v[192:193]
	v_fma_f64 v[192:193], v[152:153], s[34:35], -v[192:193]
	v_fma_f64 v[152:153], v[152:153], s[42:43], -v[218:219]
	v_add_f64 v[88:89], v[236:237], v[94:95]
	v_fma_f64 v[94:95], v[62:63], s[36:37], v[198:199]
	s_delay_alu instid0(VALU_DEP_4) | instskip(NEXT) | instid1(VALU_DEP_4)
	v_add_f64 v[78:79], v[192:193], v[78:79]
	v_add_f64 v[72:73], v[152:153], v[72:73]
	s_delay_alu instid0(VALU_DEP_4) | instskip(NEXT) | instid1(VALU_DEP_4)
	v_add_f64 v[88:89], v[116:117], v[88:89]
	v_add_f64 v[94:95], v[94:95], v[110:111]
	v_fma_f64 v[110:111], v[62:63], s[42:43], -v[96:97]
	v_fma_f64 v[96:97], v[62:63], s[42:43], v[96:97]
	s_delay_alu instid0(VALU_DEP_2) | instskip(NEXT) | instid1(VALU_DEP_2)
	v_add_f64 v[20:21], v[110:111], v[20:21]
	v_add_f64 v[6:7], v[96:97], v[6:7]
	v_fma_f64 v[96:97], v[34:35], s[44:45], -v[200:201]
	s_delay_alu instid0(VALU_DEP_1) | instskip(SKIP_1) | instid1(VALU_DEP_1)
	v_add_f64 v[86:87], v[96:97], v[86:87]
	v_fma_f64 v[96:97], v[32:33], s[44:45], v[202:203]
	v_add_f64 v[94:95], v[96:97], v[94:95]
	v_mul_f64 v[96:97], v[38:39], s[22:23]
	s_delay_alu instid0(VALU_DEP_1) | instskip(SKIP_1) | instid1(VALU_DEP_2)
	v_fma_f64 v[98:99], v[34:35], s[34:35], v[96:97]
	v_fma_f64 v[96:97], v[34:35], s[34:35], -v[96:97]
	v_add_f64 v[92:93], v[98:99], v[92:93]
	v_mul_f64 v[98:99], v[36:37], s[22:23]
	s_delay_alu instid0(VALU_DEP_3) | instskip(NEXT) | instid1(VALU_DEP_2)
	v_add_f64 v[22:23], v[96:97], v[22:23]
	v_fma_f64 v[96:97], v[32:33], s[34:35], v[98:99]
	v_fma_f64 v[110:111], v[32:33], s[34:35], -v[98:99]
	s_delay_alu instid0(VALU_DEP_2) | instskip(SKIP_1) | instid1(VALU_DEP_3)
	v_add_f64 v[6:7], v[96:97], v[6:7]
	v_mul_f64 v[96:97], v[38:39], s[26:27]
	v_add_f64 v[20:21], v[110:111], v[20:21]
	s_delay_alu instid0(VALU_DEP_2) | instskip(NEXT) | instid1(VALU_DEP_1)
	v_fma_f64 v[98:99], v[34:35], s[42:43], v[96:97]
	v_add_f64 v[12:13], v[98:99], v[12:13]
	v_fma_f64 v[98:99], v[26:27], s[38:39], -v[204:205]
	s_delay_alu instid0(VALU_DEP_1) | instskip(SKIP_1) | instid1(VALU_DEP_1)
	v_add_f64 v[86:87], v[98:99], v[86:87]
	v_fma_f64 v[98:99], v[24:25], s[38:39], v[206:207]
	v_add_f64 v[94:95], v[98:99], v[94:95]
	v_mul_f64 v[98:99], v[30:31], s[20:21]
	s_delay_alu instid0(VALU_DEP_1) | instskip(SKIP_1) | instid1(VALU_DEP_2)
	v_fma_f64 v[100:101], v[26:27], s[44:45], v[98:99]
	v_fma_f64 v[98:99], v[26:27], s[44:45], -v[98:99]
	v_add_f64 v[92:93], v[100:101], v[92:93]
	v_mul_f64 v[100:101], v[28:29], s[20:21]
	s_delay_alu instid0(VALU_DEP_3) | instskip(NEXT) | instid1(VALU_DEP_2)
	v_add_f64 v[22:23], v[98:99], v[22:23]
	v_fma_f64 v[98:99], v[24:25], s[44:45], v[100:101]
	v_fma_f64 v[102:103], v[24:25], s[44:45], -v[100:101]
	s_delay_alu instid0(VALU_DEP_2) | instskip(SKIP_1) | instid1(VALU_DEP_3)
	v_add_f64 v[6:7], v[98:99], v[6:7]
	v_mul_f64 v[98:99], v[30:31], s[10:11]
	v_add_f64 v[20:21], v[102:103], v[20:21]
	s_delay_alu instid0(VALU_DEP_2) | instskip(NEXT) | instid1(VALU_DEP_1)
	v_fma_f64 v[100:101], v[26:27], s[36:37], v[98:99]
	v_add_f64 v[12:13], v[100:101], v[12:13]
	v_fma_f64 v[100:101], v[14:15], s[34:35], -v[208:209]
	s_delay_alu instid0(VALU_DEP_1) | instskip(SKIP_1) | instid1(VALU_DEP_1)
	v_add_f64 v[86:87], v[100:101], v[86:87]
	v_fma_f64 v[100:101], v[10:11], s[34:35], v[210:211]
	v_add_f64 v[94:95], v[100:101], v[94:95]
	v_mul_f64 v[100:101], v[18:19], s[18:19]
	s_delay_alu instid0(VALU_DEP_1) | instskip(NEXT) | instid1(VALU_DEP_1)
	v_fma_f64 v[102:103], v[14:15], s[30:31], v[100:101]
	v_add_f64 v[92:93], v[102:103], v[92:93]
	v_mul_f64 v[102:103], v[16:17], s[18:19]
	s_delay_alu instid0(VALU_DEP_1) | instskip(NEXT) | instid1(VALU_DEP_1)
	v_fma_f64 v[110:111], v[10:11], s[30:31], -v[102:103]
	v_add_f64 v[110:111], v[110:111], v[20:21]
	v_mul_f64 v[20:21], v[64:65], s[12:13]
	v_mul_f64 v[64:65], v[64:65], s[22:23]
	s_delay_alu instid0(VALU_DEP_2) | instskip(SKIP_1) | instid1(VALU_DEP_3)
	v_fma_f64 v[114:115], v[62:63], s[30:31], -v[20:21]
	v_fma_f64 v[20:21], v[62:63], s[30:31], v[20:21]
	v_fma_f64 v[122:123], v[62:63], s[34:35], v[64:65]
	v_fma_f64 v[64:65], v[62:63], s[34:35], -v[64:65]
	v_fma_f64 v[62:63], v[62:63], s[44:45], -v[222:223]
	v_add_f64 v[56:57], v[114:115], v[56:57]
	v_add_f64 v[20:21], v[20:21], v[60:61]
	;; [unrolled: 1-line block ×5, first 2 shown]
	v_mul_f64 v[84:85], v[38:39], s[8:9]
	v_mul_f64 v[38:39], v[38:39], s[24:25]
	;; [unrolled: 1-line block ×5, first 2 shown]
	v_add_f64 v[64:65], v[64:65], v[90:91]
	v_fma_f64 v[90:91], v[34:35], s[42:43], -v[96:97]
	v_add_f64 v[82:83], v[122:123], v[82:83]
	v_add_f64 v[62:63], v[62:63], v[72:73]
	v_fma_f64 v[96:97], v[34:35], s[38:39], -v[84:85]
	v_fma_f64 v[84:85], v[34:35], s[38:39], v[84:85]
	v_fma_f64 v[104:105], v[34:35], s[36:37], -v[38:39]
	v_fma_f64 v[38:39], v[34:35], s[36:37], v[38:39]
	v_fma_f64 v[34:35], v[34:35], s[46:47], v[224:225]
	;; [unrolled: 1-line block ×3, first 2 shown]
	v_fma_f64 v[36:37], v[32:33], s[36:37], -v[36:37]
	v_fma_f64 v[112:113], v[32:33], s[42:43], -v[106:107]
	v_fma_f64 v[106:107], v[32:33], s[42:43], v[106:107]
	v_fma_f64 v[114:115], v[32:33], s[38:39], v[108:109]
	v_fma_f64 v[108:109], v[32:33], s[38:39], -v[108:109]
	v_add_f64 v[58:59], v[90:91], v[58:59]
	v_mul_f64 v[90:91], v[28:29], s[18:19]
	v_fma_f64 v[32:33], v[32:33], s[46:47], -v[226:227]
	v_add_f64 v[66:67], v[96:97], v[66:67]
	v_add_f64 v[60:61], v[84:85], v[60:61]
	;; [unrolled: 1-line block ×5, first 2 shown]
	v_mul_f64 v[74:75], v[28:29], s[10:11]
	v_add_f64 v[36:37], v[36:37], v[64:65]
	v_mul_f64 v[64:65], v[30:31], s[18:19]
	v_mul_f64 v[30:31], v[30:31], s[50:51]
	v_add_f64 v[20:21], v[106:107], v[20:21]
	v_mul_f64 v[28:29], v[28:29], s[50:51]
	v_add_f64 v[80:81], v[116:117], v[82:83]
	v_add_f64 v[82:83], v[114:115], v[88:89]
	;; [unrolled: 1-line block ×3, first 2 shown]
	v_fma_f64 v[78:79], v[26:27], s[36:37], -v[98:99]
	v_fma_f64 v[98:99], v[24:25], s[30:31], v[90:91]
	v_fma_f64 v[90:91], v[24:25], s[30:31], -v[90:91]
	v_add_f64 v[56:57], v[112:113], v[56:57]
	v_add_f64 v[32:33], v[32:33], v[62:63]
	v_fma_f64 v[96:97], v[24:25], s[36:37], -v[74:75]
	v_fma_f64 v[74:75], v[24:25], s[36:37], v[74:75]
	v_fma_f64 v[84:85], v[26:27], s[30:31], -v[64:65]
	v_fma_f64 v[88:89], v[26:27], s[46:47], -v[30:31]
	v_fma_f64 v[30:31], v[26:27], s[46:47], v[30:31]
	v_fma_f64 v[64:65], v[26:27], s[30:31], v[64:65]
	;; [unrolled: 1-line block ×4, first 2 shown]
	v_fma_f64 v[28:29], v[24:25], s[46:47], -v[28:29]
	v_fma_f64 v[24:25], v[24:25], s[40:41], -v[230:231]
	v_add_f64 v[58:59], v[78:79], v[58:59]
	v_add_f64 v[78:79], v[98:99], v[82:83]
	;; [unrolled: 1-line block ×4, first 2 shown]
	v_mul_f64 v[74:75], v[18:19], s[48:49]
	v_add_f64 v[62:63], v[84:85], v[66:67]
	v_add_f64 v[30:31], v[30:31], v[38:39]
	v_mul_f64 v[38:39], v[18:19], s[16:17]
	v_mul_f64 v[18:19], v[18:19], s[14:15]
	v_add_f64 v[66:67], v[88:89], v[72:73]
	v_add_f64 v[60:61], v[64:65], v[60:61]
	;; [unrolled: 1-line block ×4, first 2 shown]
	v_fma_f64 v[36:37], v[14:15], s[30:31], -v[100:101]
	v_add_f64 v[26:27], v[26:27], v[34:35]
	v_mul_f64 v[34:35], v[16:17], s[48:49]
	v_mul_f64 v[84:85], v[16:17], s[16:17]
	;; [unrolled: 1-line block ×3, first 2 shown]
	v_fma_f64 v[88:89], v[10:11], s[30:31], v[102:103]
	v_add_f64 v[72:73], v[104:105], v[80:81]
	v_add_f64 v[24:25], v[24:25], v[32:33]
	v_fma_f64 v[104:105], v[4:5], s[34:35], v[238:239]
	v_fma_f64 v[76:77], v[14:15], s[40:41], v[74:75]
	v_fma_f64 v[74:75], v[14:15], s[40:41], -v[74:75]
	v_fma_f64 v[80:81], v[14:15], s[44:45], -v[38:39]
	;; [unrolled: 1-line block ×3, first 2 shown]
	v_fma_f64 v[18:19], v[14:15], s[42:43], v[18:19]
	v_fma_f64 v[38:39], v[14:15], s[44:45], v[38:39]
	;; [unrolled: 1-line block ×3, first 2 shown]
	v_add_f64 v[22:23], v[36:37], v[22:23]
	v_fma_f64 v[90:91], v[10:11], s[40:41], -v[34:35]
	v_fma_f64 v[34:35], v[10:11], s[40:41], v[34:35]
	v_fma_f64 v[96:97], v[10:11], s[44:45], v[84:85]
	;; [unrolled: 1-line block ×3, first 2 shown]
	v_fma_f64 v[16:17], v[10:11], s[42:43], -v[16:17]
	v_add_f64 v[32:33], v[88:89], v[6:7]
	v_mul_f64 v[6:7], v[8:9], s[0:1]
	v_mul_f64 v[88:89], v[170:171], s[12:13]
	v_fma_f64 v[84:85], v[10:11], s[44:45], -v[84:85]
	v_fma_f64 v[10:11], v[10:11], s[36:37], -v[234:235]
	v_add_f64 v[36:37], v[76:77], v[12:13]
	v_add_f64 v[12:13], v[74:75], v[58:59]
	v_mul_f64 v[58:59], v[8:9], s[8:9]
	v_mul_f64 v[74:75], v[8:9], s[10:11]
	;; [unrolled: 1-line block ×3, first 2 shown]
	v_add_f64 v[66:67], v[82:83], v[66:67]
	v_mul_f64 v[76:77], v[170:171], s[0:1]
	v_mul_f64 v[82:83], v[170:171], s[10:11]
	v_add_f64 v[62:63], v[80:81], v[62:63]
	v_mul_f64 v[80:81], v[170:171], s[8:9]
	v_add_f64 v[38:39], v[38:39], v[60:61]
	v_add_f64 v[56:57], v[90:91], v[56:57]
	;; [unrolled: 1-line block ×5, first 2 shown]
	v_fma_f64 v[20:21], v[4:5], s[42:43], -v[212:213]
	v_add_f64 v[98:99], v[18:19], v[30:31]
	v_fma_f64 v[96:97], v[4:5], s[40:41], -v[6:7]
	v_add_f64 v[100:101], v[16:17], v[28:29]
	v_fma_f64 v[30:31], v[154:155], s[30:31], v[88:89]
	v_fma_f64 v[60:61], v[4:5], s[40:41], v[6:7]
	v_add_f64 v[64:65], v[84:85], v[64:65]
	v_fma_f64 v[90:91], v[154:155], s[42:43], v[214:215]
	v_add_f64 v[108:109], v[10:11], v[24:25]
	v_fma_f64 v[84:85], v[4:5], s[38:39], v[58:59]
	v_fma_f64 v[58:59], v[4:5], s[38:39], -v[58:59]
	v_fma_f64 v[16:17], v[4:5], s[30:31], -v[8:9]
	;; [unrolled: 1-line block ×3, first 2 shown]
	v_fma_f64 v[74:75], v[4:5], s[36:37], v[74:75]
	v_fma_f64 v[102:103], v[4:5], s[30:31], v[8:9]
	v_fma_f64 v[28:29], v[154:155], s[40:41], -v[76:77]
	v_fma_f64 v[4:5], v[154:155], s[40:41], v[76:77]
	v_add_f64 v[76:77], v[14:15], v[26:27]
	v_fma_f64 v[26:27], v[154:155], s[36:37], v[82:83]
	v_fma_f64 v[8:9], v[154:155], s[38:39], v[80:81]
	v_fma_f64 v[106:107], v[154:155], s[38:39], -v[80:81]
	v_fma_f64 v[80:81], v[154:155], s[36:37], -v[82:83]
	;; [unrolled: 1-line block ×4, first 2 shown]
	v_add_f64 v[6:7], v[20:21], v[86:87]
	v_add_f64 v[10:11], v[96:97], v[22:23]
	;; [unrolled: 1-line block ×20, first 2 shown]
	ds_store_b128 v255, v[0:3]
	ds_store_b128 v255, v[180:183] offset:800
	ds_store_b128 v255, v[20:23] offset:1600
	;; [unrolled: 1-line block ×16, first 2 shown]
.LBB0_9:
	s_or_b32 exec_lo, exec_lo, s33
	s_waitcnt lgkmcnt(0)
	s_waitcnt_vscnt null, 0x0
	s_barrier
	buffer_gl0_inv
	ds_load_b128 v[0:3], v255
	ds_load_b128 v[4:7], v255 offset:1360
	ds_load_b128 v[8:11], v255 offset:2720
	;; [unrolled: 1-line block ×3, first 2 shown]
	scratch_load_b64 v[16:17], off, off offset:16 ; 8-byte Folded Reload
	s_mul_i32 s0, s5, 0x550
	s_mul_hi_u32 s1, s4, 0x550
	s_waitcnt vmcnt(0)
	v_mov_b32_e32 v86, v16
	ds_load_b128 v[16:19], v255 offset:5440
	ds_load_b128 v[20:23], v255 offset:6800
	scratch_load_b32 v87, off, off offset:24 ; 4-byte Folded Reload
	ds_load_b128 v[24:27], v255 offset:8160
	ds_load_b128 v[28:31], v255 offset:9520
	;; [unrolled: 1-line block ×4, first 2 shown]
	s_clause 0x1
	scratch_load_b128 v[88:91], off, off offset:28
	scratch_load_b128 v[100:103], off, off offset:108
	v_mad_u64_u32 v[40:41], null, s6, v86, 0
	scratch_load_b128 v[108:111], off, off offset:156 ; 16-byte Folded Reload
	s_waitcnt vmcnt(3)
	v_mad_u64_u32 v[42:43], null, s4, v87, 0
	s_waitcnt vmcnt(2) lgkmcnt(9)
	v_mul_f64 v[44:45], v[90:91], v[2:3]
	v_mul_f64 v[46:47], v[90:91], v[0:1]
	scratch_load_b128 v[90:93], off, off offset:44 ; 16-byte Folded Reload
	s_waitcnt vmcnt(2) lgkmcnt(5)
	v_mul_f64 v[60:61], v[102:103], v[18:19]
	v_mul_f64 v[62:63], v[102:103], v[16:17]
	scratch_load_b128 v[102:105], off, off offset:124 ; 16-byte Folded Reload
	v_mad_u64_u32 v[84:85], null, s7, v86, v[41:42]
	s_waitcnt vmcnt(2) lgkmcnt(2)
	v_mul_f64 v[72:73], v[110:111], v[30:31]
	v_mul_f64 v[74:75], v[110:111], v[28:29]
	scratch_load_b128 v[110:113], off, off offset:172 ; 16-byte Folded Reload
	v_mov_b32_e32 v41, v84
	s_delay_alu instid0(VALU_DEP_1) | instskip(NEXT) | instid1(VALU_DEP_1)
	v_lshlrev_b64 v[40:41], 4, v[40:41]
	v_add_co_u32 v40, vcc_lo, s2, v40
	s_delay_alu instid0(VALU_DEP_2)
	v_add_co_ci_u32_e32 v41, vcc_lo, s3, v41, vcc_lo
	s_add_i32 s3, s1, s0
	s_mov_b32 s0, 0xace01346
	s_mov_b32 s1, 0x3f534679
	s_mul_i32 s2, s4, 0x550
	v_fma_f64 v[0:1], v[88:89], v[0:1], v[44:45]
	v_fma_f64 v[2:3], v[88:89], v[2:3], -v[46:47]
	v_mad_u64_u32 v[85:86], null, s5, v87, v[43:44]
	v_fma_f64 v[16:17], v[100:101], v[16:17], v[60:61]
	v_fma_f64 v[18:19], v[100:101], v[18:19], -v[62:63]
	v_fma_f64 v[28:29], v[108:109], v[28:29], v[72:73]
	v_fma_f64 v[30:31], v[108:109], v[30:31], -v[74:75]
	v_mov_b32_e32 v43, v85
	s_delay_alu instid0(VALU_DEP_1) | instskip(NEXT) | instid1(VALU_DEP_1)
	v_lshlrev_b64 v[42:43], 4, v[42:43]
	v_add_co_u32 v40, vcc_lo, v40, v42
	s_delay_alu instid0(VALU_DEP_2) | instskip(NEXT) | instid1(VALU_DEP_2)
	v_add_co_ci_u32_e32 v41, vcc_lo, v41, v43, vcc_lo
	v_add_co_u32 v42, vcc_lo, v40, s2
	s_delay_alu instid0(VALU_DEP_2) | instskip(NEXT) | instid1(VALU_DEP_2)
	v_add_co_ci_u32_e32 v43, vcc_lo, s3, v41, vcc_lo
	;; [unrolled: 3-line block ×3, first 2 shown]
	v_add_co_u32 v46, vcc_lo, v44, s2
	v_mul_f64 v[0:1], v[0:1], s[0:1]
	v_mul_f64 v[2:3], v[2:3], s[0:1]
	s_delay_alu instid0(VALU_DEP_4)
	v_add_co_ci_u32_e32 v47, vcc_lo, s3, v45, vcc_lo
	v_mul_f64 v[16:17], v[16:17], s[0:1]
	v_mul_f64 v[18:19], v[18:19], s[0:1]
	;; [unrolled: 1-line block ×4, first 2 shown]
	s_waitcnt vmcnt(2)
	v_mul_f64 v[48:49], v[92:93], v[6:7]
	v_mul_f64 v[50:51], v[92:93], v[4:5]
	scratch_load_b128 v[92:95], off, off offset:60 ; 16-byte Folded Reload
	s_waitcnt vmcnt(2)
	v_mul_f64 v[68:69], v[104:105], v[26:27]
	v_mul_f64 v[70:71], v[104:105], v[24:25]
	scratch_load_b128 v[104:107], off, off offset:140 ; 16-byte Folded Reload
	s_waitcnt vmcnt(2) lgkmcnt(0)
	v_mul_f64 v[80:81], v[112:113], v[38:39]
	v_mul_f64 v[82:83], v[112:113], v[36:37]
	v_fma_f64 v[4:5], v[90:91], v[4:5], v[48:49]
	v_fma_f64 v[6:7], v[90:91], v[6:7], -v[50:51]
	v_add_co_u32 v48, vcc_lo, v46, s2
	v_fma_f64 v[24:25], v[102:103], v[24:25], v[68:69]
	v_fma_f64 v[26:27], v[102:103], v[26:27], -v[70:71]
	v_add_co_ci_u32_e32 v49, vcc_lo, s3, v47, vcc_lo
	s_delay_alu instid0(VALU_DEP_4) | instskip(SKIP_2) | instid1(VALU_DEP_4)
	v_add_co_u32 v50, vcc_lo, v48, s2
	v_fma_f64 v[36:37], v[110:111], v[36:37], v[80:81]
	v_fma_f64 v[38:39], v[110:111], v[38:39], -v[82:83]
	v_add_co_ci_u32_e32 v51, vcc_lo, s3, v49, vcc_lo
	v_mul_f64 v[4:5], v[4:5], s[0:1]
	v_mul_f64 v[6:7], v[6:7], s[0:1]
	;; [unrolled: 1-line block ×6, first 2 shown]
	s_waitcnt vmcnt(1)
	v_mul_f64 v[52:53], v[94:95], v[10:11]
	v_mul_f64 v[54:55], v[94:95], v[8:9]
	scratch_load_b128 v[94:97], off, off offset:76 ; 16-byte Folded Reload
	s_waitcnt vmcnt(1)
	v_mul_f64 v[76:77], v[106:107], v[34:35]
	v_mul_f64 v[78:79], v[106:107], v[32:33]
	v_fma_f64 v[8:9], v[92:93], v[8:9], v[52:53]
	v_fma_f64 v[10:11], v[92:93], v[10:11], -v[54:55]
	v_add_co_u32 v52, vcc_lo, v50, s2
	v_fma_f64 v[32:33], v[104:105], v[32:33], v[76:77]
	v_fma_f64 v[34:35], v[104:105], v[34:35], -v[78:79]
	v_add_co_ci_u32_e32 v53, vcc_lo, s3, v51, vcc_lo
	s_delay_alu instid0(VALU_DEP_4) | instskip(NEXT) | instid1(VALU_DEP_2)
	v_add_co_u32 v54, vcc_lo, v52, s2
	v_add_co_ci_u32_e32 v55, vcc_lo, s3, v53, vcc_lo
	v_mul_f64 v[8:9], v[8:9], s[0:1]
	v_mul_f64 v[10:11], v[10:11], s[0:1]
	;; [unrolled: 1-line block ×4, first 2 shown]
	s_waitcnt vmcnt(0)
	v_mul_f64 v[56:57], v[96:97], v[14:15]
	v_mul_f64 v[58:59], v[96:97], v[12:13]
	scratch_load_b128 v[96:99], off, off offset:92 ; 16-byte Folded Reload
	v_fma_f64 v[12:13], v[94:95], v[12:13], v[56:57]
	v_fma_f64 v[14:15], v[94:95], v[14:15], -v[58:59]
	s_delay_alu instid0(VALU_DEP_2) | instskip(NEXT) | instid1(VALU_DEP_2)
	v_mul_f64 v[12:13], v[12:13], s[0:1]
	v_mul_f64 v[14:15], v[14:15], s[0:1]
	s_clause 0x3
	global_store_b128 v[40:41], v[0:3], off
	global_store_b128 v[42:43], v[4:7], off
	;; [unrolled: 1-line block ×4, first 2 shown]
	v_add_co_u32 v0, vcc_lo, v54, s2
	v_add_co_ci_u32_e32 v1, vcc_lo, s3, v55, vcc_lo
	global_store_b128 v[48:49], v[16:19], off
	v_add_co_u32 v2, vcc_lo, v0, s2
	v_add_co_ci_u32_e32 v3, vcc_lo, s3, v1, vcc_lo
	s_waitcnt vmcnt(0)
	v_mul_f64 v[64:65], v[98:99], v[22:23]
	v_mul_f64 v[66:67], v[98:99], v[20:21]
	s_delay_alu instid0(VALU_DEP_2) | instskip(NEXT) | instid1(VALU_DEP_2)
	v_fma_f64 v[20:21], v[96:97], v[20:21], v[64:65]
	v_fma_f64 v[22:23], v[96:97], v[22:23], -v[66:67]
	s_delay_alu instid0(VALU_DEP_2) | instskip(NEXT) | instid1(VALU_DEP_2)
	v_mul_f64 v[20:21], v[20:21], s[0:1]
	v_mul_f64 v[22:23], v[22:23], s[0:1]
	global_store_b128 v[50:51], v[20:23], off
	global_store_b128 v[52:53], v[24:27], off
	;; [unrolled: 1-line block ×5, first 2 shown]
.LBB0_10:
	s_nop 0
	s_sendmsg sendmsg(MSG_DEALLOC_VGPRS)
	s_endpgm
	.section	.rodata,"a",@progbits
	.p2align	6, 0x0
	.amdhsa_kernel bluestein_single_fwd_len850_dim1_dp_op_CI_CI
		.amdhsa_group_segment_fixed_size 13600
		.amdhsa_private_segment_fixed_size 1536
		.amdhsa_kernarg_size 104
		.amdhsa_user_sgpr_count 15
		.amdhsa_user_sgpr_dispatch_ptr 0
		.amdhsa_user_sgpr_queue_ptr 0
		.amdhsa_user_sgpr_kernarg_segment_ptr 1
		.amdhsa_user_sgpr_dispatch_id 0
		.amdhsa_user_sgpr_private_segment_size 0
		.amdhsa_wavefront_size32 1
		.amdhsa_uses_dynamic_stack 0
		.amdhsa_enable_private_segment 1
		.amdhsa_system_sgpr_workgroup_id_x 1
		.amdhsa_system_sgpr_workgroup_id_y 0
		.amdhsa_system_sgpr_workgroup_id_z 0
		.amdhsa_system_sgpr_workgroup_info 0
		.amdhsa_system_vgpr_workitem_id 0
		.amdhsa_next_free_vgpr 256
		.amdhsa_next_free_sgpr 56
		.amdhsa_reserve_vcc 1
		.amdhsa_float_round_mode_32 0
		.amdhsa_float_round_mode_16_64 0
		.amdhsa_float_denorm_mode_32 3
		.amdhsa_float_denorm_mode_16_64 3
		.amdhsa_dx10_clamp 1
		.amdhsa_ieee_mode 1
		.amdhsa_fp16_overflow 0
		.amdhsa_workgroup_processor_mode 1
		.amdhsa_memory_ordered 1
		.amdhsa_forward_progress 0
		.amdhsa_shared_vgpr_count 0
		.amdhsa_exception_fp_ieee_invalid_op 0
		.amdhsa_exception_fp_denorm_src 0
		.amdhsa_exception_fp_ieee_div_zero 0
		.amdhsa_exception_fp_ieee_overflow 0
		.amdhsa_exception_fp_ieee_underflow 0
		.amdhsa_exception_fp_ieee_inexact 0
		.amdhsa_exception_int_div_zero 0
	.end_amdhsa_kernel
	.text
.Lfunc_end0:
	.size	bluestein_single_fwd_len850_dim1_dp_op_CI_CI, .Lfunc_end0-bluestein_single_fwd_len850_dim1_dp_op_CI_CI
                                        ; -- End function
	.section	.AMDGPU.csdata,"",@progbits
; Kernel info:
; codeLenInByte = 28008
; NumSgprs: 58
; NumVgprs: 256
; ScratchSize: 1536
; MemoryBound: 0
; FloatMode: 240
; IeeeMode: 1
; LDSByteSize: 13600 bytes/workgroup (compile time only)
; SGPRBlocks: 7
; VGPRBlocks: 31
; NumSGPRsForWavesPerEU: 58
; NumVGPRsForWavesPerEU: 256
; Occupancy: 5
; WaveLimiterHint : 1
; COMPUTE_PGM_RSRC2:SCRATCH_EN: 1
; COMPUTE_PGM_RSRC2:USER_SGPR: 15
; COMPUTE_PGM_RSRC2:TRAP_HANDLER: 0
; COMPUTE_PGM_RSRC2:TGID_X_EN: 1
; COMPUTE_PGM_RSRC2:TGID_Y_EN: 0
; COMPUTE_PGM_RSRC2:TGID_Z_EN: 0
; COMPUTE_PGM_RSRC2:TIDIG_COMP_CNT: 0
	.text
	.p2alignl 7, 3214868480
	.fill 96, 4, 3214868480
	.type	__hip_cuid_293b3c7bc3efb184,@object ; @__hip_cuid_293b3c7bc3efb184
	.section	.bss,"aw",@nobits
	.globl	__hip_cuid_293b3c7bc3efb184
__hip_cuid_293b3c7bc3efb184:
	.byte	0                               ; 0x0
	.size	__hip_cuid_293b3c7bc3efb184, 1

	.ident	"AMD clang version 19.0.0git (https://github.com/RadeonOpenCompute/llvm-project roc-6.4.0 25133 c7fe45cf4b819c5991fe208aaa96edf142730f1d)"
	.section	".note.GNU-stack","",@progbits
	.addrsig
	.addrsig_sym __hip_cuid_293b3c7bc3efb184
	.amdgpu_metadata
---
amdhsa.kernels:
  - .args:
      - .actual_access:  read_only
        .address_space:  global
        .offset:         0
        .size:           8
        .value_kind:     global_buffer
      - .actual_access:  read_only
        .address_space:  global
        .offset:         8
        .size:           8
        .value_kind:     global_buffer
      - .actual_access:  read_only
        .address_space:  global
        .offset:         16
        .size:           8
        .value_kind:     global_buffer
      - .actual_access:  read_only
        .address_space:  global
        .offset:         24
        .size:           8
        .value_kind:     global_buffer
      - .actual_access:  read_only
        .address_space:  global
        .offset:         32
        .size:           8
        .value_kind:     global_buffer
      - .offset:         40
        .size:           8
        .value_kind:     by_value
      - .address_space:  global
        .offset:         48
        .size:           8
        .value_kind:     global_buffer
      - .address_space:  global
        .offset:         56
        .size:           8
        .value_kind:     global_buffer
      - .address_space:  global
        .offset:         64
        .size:           8
        .value_kind:     global_buffer
      - .address_space:  global
        .offset:         72
        .size:           8
        .value_kind:     global_buffer
      - .offset:         80
        .size:           4
        .value_kind:     by_value
      - .address_space:  global
        .offset:         88
        .size:           8
        .value_kind:     global_buffer
      - .address_space:  global
        .offset:         96
        .size:           8
        .value_kind:     global_buffer
    .group_segment_fixed_size: 13600
    .kernarg_segment_align: 8
    .kernarg_segment_size: 104
    .language:       OpenCL C
    .language_version:
      - 2
      - 0
    .max_flat_workgroup_size: 85
    .name:           bluestein_single_fwd_len850_dim1_dp_op_CI_CI
    .private_segment_fixed_size: 1536
    .sgpr_count:     58
    .sgpr_spill_count: 0
    .symbol:         bluestein_single_fwd_len850_dim1_dp_op_CI_CI.kd
    .uniform_work_group_size: 1
    .uses_dynamic_stack: false
    .vgpr_count:     256
    .vgpr_spill_count: 411
    .wavefront_size: 32
    .workgroup_processor_mode: 1
amdhsa.target:   amdgcn-amd-amdhsa--gfx1100
amdhsa.version:
  - 1
  - 2
...

	.end_amdgpu_metadata
